;; amdgpu-corpus repo=ROCm/rocFFT kind=compiled arch=gfx950 opt=O3
	.text
	.amdgcn_target "amdgcn-amd-amdhsa--gfx950"
	.amdhsa_code_object_version 6
	.protected	bluestein_single_back_len375_dim1_sp_op_CI_CI ; -- Begin function bluestein_single_back_len375_dim1_sp_op_CI_CI
	.globl	bluestein_single_back_len375_dim1_sp_op_CI_CI
	.p2align	8
	.type	bluestein_single_back_len375_dim1_sp_op_CI_CI,@function
bluestein_single_back_len375_dim1_sp_op_CI_CI: ; @bluestein_single_back_len375_dim1_sp_op_CI_CI
; %bb.0:
	s_load_dwordx4 s[12:15], s[0:1], 0x28
	v_mul_u32_u24_e32 v1, 0xa3e, v0
	v_lshrrev_b32_e32 v2, 16, v1
	v_mad_u64_u32 v[76:77], s[2:3], s2, 5, v[2:3]
	v_mov_b32_e32 v77, 0
	s_waitcnt lgkmcnt(0)
	v_cmp_gt_u64_e32 vcc, s[12:13], v[76:77]
	s_and_saveexec_b64 s[2:3], vcc
	s_cbranch_execz .LBB0_2
; %bb.1:
	s_load_dwordx4 s[4:7], s[0:1], 0x18
	s_load_dwordx4 s[8:11], s[0:1], 0x0
	v_mov_b32_e32 v4, s14
	v_mov_b32_e32 v5, s15
	v_mul_lo_u16_e32 v1, 25, v2
	s_waitcnt lgkmcnt(0)
	s_load_dwordx4 s[12:15], s[4:5], 0x0
	v_sub_u16_e32 v86, v0, v1
	v_mov_b32_e32 v77, 0x258
	v_lshlrev_b32_e32 v103, 3, v86
	global_load_dwordx2 v[92:93], v103, s[8:9]
	global_load_dwordx2 v[90:91], v103, s[8:9] offset:600
	global_load_dwordx2 v[88:89], v103, s[8:9] offset:1200
	s_waitcnt lgkmcnt(0)
	v_mad_u64_u32 v[0:1], s[2:3], s14, v76, 0
	v_mov_b32_e32 v2, v1
	v_mad_u64_u32 v[2:3], s[2:3], s15, v76, v[2:3]
	v_mov_b32_e32 v1, v2
	;; [unrolled: 2-line block ×4, first 2 shown]
	v_lshl_add_u64 v[0:1], v[0:1], 3, v[4:5]
	v_lshl_add_u64 v[0:1], v[2:3], 3, v[0:1]
	global_load_dwordx2 v[2:3], v[0:1], off
	v_mad_u64_u32 v[0:1], s[2:3], s12, v77, v[0:1]
	s_mul_i32 s4, s13, 0x258
	v_add_u32_e32 v1, s4, v1
	v_mad_u64_u32 v[4:5], s[2:3], s12, v77, v[0:1]
	v_add_u32_e32 v5, s4, v5
	v_mad_u64_u32 v[6:7], s[2:3], s12, v77, v[4:5]
	v_add_u32_e32 v7, s4, v7
	global_load_dwordx2 v[84:85], v103, s[8:9] offset:1800
	global_load_dwordx2 v[8:9], v[0:1], off
	v_mad_u64_u32 v[0:1], s[2:3], s12, v77, v[6:7]
	v_add_u32_e32 v1, s4, v1
	v_mov_b32_e32 v95, 0xfffff768
	global_load_dwordx2 v[10:11], v[4:5], off
	global_load_dwordx2 v[12:13], v[6:7], off
	;; [unrolled: 1-line block ×3, first 2 shown]
	global_load_dwordx2 v[80:81], v103, s[8:9] offset:2400
	v_mad_u64_u32 v[0:1], s[2:3], s12, v95, v[0:1]
	s_add_u32 s16, s8, 0xbb8
	s_mul_i32 s2, s13, 0xfffff768
	s_addc_u32 s17, s9, 0
	s_sub_i32 s5, s2, s12
	v_add_u32_e32 v1, s5, v1
	global_load_dwordx2 v[4:5], v[0:1], off
	global_load_dwordx2 v[82:83], v103, s[8:9] offset:200
	v_mad_u64_u32 v[0:1], s[2:3], s12, v77, v[0:1]
	v_add_u32_e32 v1, s4, v1
	global_load_dwordx2 v[6:7], v[0:1], off
	global_load_dwordx2 v[78:79], v103, s[8:9] offset:800
	v_mad_u64_u32 v[0:1], s[2:3], s12, v77, v[0:1]
	;; [unrolled: 4-line block ×7, first 2 shown]
	v_add_u32_e32 v1, s4, v1
	global_load_dwordx2 v[26:27], v[0:1], off
	global_load_dwordx2 v[62:63], v103, s[8:9] offset:2200
	global_load_dwordx2 v[72:73], v103, s[8:9] offset:1600
	v_mad_u64_u32 v[0:1], s[2:3], s12, v77, v[0:1]
	v_add_u32_e32 v1, s4, v1
	global_load_dwordx2 v[28:29], v[0:1], off
	v_mad_u64_u32 v[0:1], s[2:3], s12, v77, v[0:1]
	v_add_u32_e32 v1, s4, v1
	global_load_dwordx2 v[30:31], v[0:1], off
	global_load_dwordx2 v[60:61], v103, s[8:9] offset:2800
	s_mov_b32 s2, 0xcccccccd
	v_mul_hi_u32 v0, v76, s2
	v_lshrrev_b32_e32 v0, 2, v0
	v_lshl_add_u32 v0, v0, 2, v0
	v_sub_u32_e32 v0, v76, v0
	v_mul_u32_u24_e32 v1, 0x177, v0
	v_lshlrev_b32_e32 v40, 3, v1
	v_add_u32_e32 v97, v103, v40
	v_add_u32_e32 v99, 0x400, v97
	;; [unrolled: 1-line block ×3, first 2 shown]
	s_load_dwordx4 s[4:7], s[6:7], 0x0
	s_mov_b32 s2, 0x3f737871
	s_mov_b32 s14, 0x3f167918
	s_mov_b32 s12, 0x3e9e377a
	s_load_dwordx2 s[0:1], s[0:1], 0x38
	s_waitcnt vmcnt(26)
	v_mul_f32_e32 v0, v3, v93
	v_mul_f32_e32 v1, v2, v93
	v_fmac_f32_e32 v0, v2, v92
	v_fma_f32 v1, v3, v92, -v1
	s_waitcnt vmcnt(24)
	v_mul_f32_e32 v2, v9, v91
	v_mul_f32_e32 v3, v8, v91
	v_fmac_f32_e32 v2, v8, v90
	v_fma_f32 v3, v9, v90, -v3
	ds_write_b64 v97, v[2:3] offset:600
	s_waitcnt vmcnt(23)
	v_mul_f32_e32 v2, v11, v89
	v_mul_f32_e32 v3, v10, v89
	v_fmac_f32_e32 v2, v10, v88
	v_fma_f32 v3, v11, v88, -v3
	ds_write_b64 v97, v[2:3] offset:1200
	;; [unrolled: 6-line block ×4, first 2 shown]
	s_waitcnt vmcnt(18)
	v_mul_f32_e32 v2, v5, v83
	v_mul_f32_e32 v3, v4, v83
	v_fmac_f32_e32 v2, v4, v82
	v_fma_f32 v3, v5, v82, -v3
	ds_write2_b64 v97, v[0:1], v[2:3] offset1:25
	s_waitcnt vmcnt(16)
	v_mul_f32_e32 v0, v7, v79
	v_mul_f32_e32 v1, v6, v79
	v_fmac_f32_e32 v0, v6, v78
	v_fma_f32 v1, v7, v78, -v1
	s_waitcnt vmcnt(14)
	v_mul_f32_e32 v2, v17, v75
	v_mul_f32_e32 v3, v16, v75
	v_fmac_f32_e32 v2, v16, v74
	v_fma_f32 v3, v17, v74, -v3
	;; [unrolled: 5-line block ×3, first 2 shown]
	ds_write_b64 v97, v[8:9] offset:400
	s_waitcnt vmcnt(6)
	v_mul_f32_e32 v8, v25, v65
	v_mul_f32_e32 v9, v24, v65
	v_fmac_f32_e32 v8, v24, v64
	v_fma_f32 v9, v25, v64, -v9
	ds_write2_b64 v97, v[0:1], v[8:9] offset0:100 offset1:125
	s_waitcnt vmcnt(3)
	v_mul_f32_e32 v0, v27, v73
	v_mul_f32_e32 v1, v26, v73
	v_fmac_f32_e32 v0, v26, v72
	v_fma_f32 v1, v27, v72, -v1
	v_mul_f32_e32 v4, v19, v71
	v_mul_f32_e32 v5, v18, v71
	ds_write2_b64 v97, v[2:3], v[0:1] offset0:175 offset1:200
	s_waitcnt vmcnt(2)
	v_mul_f32_e32 v0, v29, v63
	v_mul_f32_e32 v1, v28, v63
	v_fmac_f32_e32 v4, v18, v70
	v_fma_f32 v5, v19, v70, -v5
	v_fmac_f32_e32 v0, v28, v62
	v_fma_f32 v1, v29, v62, -v1
	v_mul_f32_e32 v6, v21, v69
	v_mul_f32_e32 v7, v20, v69
	ds_write2_b64 v99, v[4:5], v[0:1] offset0:122 offset1:147
	s_waitcnt vmcnt(0)
	v_mul_f32_e32 v0, v31, v61
	v_mul_f32_e32 v1, v30, v61
	v_fmac_f32_e32 v6, v20, v68
	v_fma_f32 v7, v21, v68, -v7
	v_fmac_f32_e32 v0, v30, v60
	v_fma_f32 v1, v31, v60, -v1
	ds_write2_b64 v101, v[6:7], v[0:1] offset0:69 offset1:94
	s_waitcnt lgkmcnt(0)
	s_barrier
	ds_read2_b64 v[0:3], v97 offset1:25
	ds_read2_b64 v[4:7], v97 offset0:100 offset1:125
	ds_read2_b64 v[8:11], v97 offset0:150 offset1:175
	;; [unrolled: 1-line block ×3, first 2 shown]
	v_mul_lo_u16_e32 v20, 5, v86
	v_lshl_add_u32 v105, v20, 3, v40
	ds_read2_b64 v[16:19], v101 offset0:44 offset1:69
	ds_read2_b64 v[24:27], v97 offset0:200 offset1:225
	s_waitcnt lgkmcnt(2)
	v_pk_add_f32 v[20:21], v[10:11], v[12:13]
	ds_read_b64 v[34:35], v97 offset:2800
	v_pk_fma_f32 v[30:31], v[20:21], 0.5, v[2:3] op_sel_hi:[1,0,1] neg_lo:[1,0,0] neg_hi:[1,0,0]
	ds_read2_b64 v[20:23], v97 offset0:50 offset1:75
	s_waitcnt lgkmcnt(2)
	v_pk_add_f32 v[38:39], v[8:9], v[26:27]
	v_pk_add_f32 v[46:47], v[8:9], v[26:27] neg_lo:[0,1] neg_hi:[0,1]
	v_pk_fma_f32 v[38:39], v[38:39], 0.5, v[0:1] op_sel_hi:[1,0,1] neg_lo:[1,0,0] neg_hi:[1,0,0]
	v_pk_add_f32 v[50:51], v[16:17], v[26:27] neg_lo:[0,1] neg_hi:[0,1]
	s_waitcnt lgkmcnt(0)
	v_pk_add_f32 v[42:43], v[22:23], v[16:17] neg_lo:[0,1] neg_hi:[0,1]
	v_pk_add_f32 v[48:49], v[22:23], v[8:9] neg_lo:[0,1] neg_hi:[0,1]
	v_pk_mul_f32 v[44:45], v[42:43], s[2:3] op_sel_hi:[1,0]
	v_pk_add_f32 v[36:37], v[0:1], v[22:23]
	v_pk_add_f32 v[50:51], v[48:49], v[50:51]
	v_pk_add_f32 v[48:49], v[38:39], v[44:45] op_sel:[0,1] op_sel_hi:[1,0]
	v_pk_add_f32 v[38:39], v[38:39], v[44:45] op_sel:[0,1] op_sel_hi:[1,0] neg_lo:[0,1] neg_hi:[0,1]
	v_pk_mul_f32 v[44:45], v[46:47], s[14:15] op_sel_hi:[1,0]
	v_pk_add_f32 v[36:37], v[36:37], v[8:9]
	v_pk_add_f32 v[38:39], v[38:39], v[44:45] op_sel:[0,1] op_sel_hi:[1,0] neg_lo:[0,1] neg_hi:[0,1]
	v_pk_add_f32 v[52:53], v[48:49], v[44:45] op_sel:[0,1] op_sel_hi:[1,0]
	v_pk_add_f32 v[36:37], v[36:37], v[26:27]
	v_mov_b32_e32 v44, v52
	v_mov_b32_e32 v45, v39
	v_pk_add_f32 v[36:37], v[36:37], v[16:17]
	v_pk_fma_f32 v[44:45], v[50:51], s[12:13], v[44:45] op_sel_hi:[1,0,1]
	s_barrier
	ds_write2_b64 v105, v[36:37], v[44:45] offset1:1
	v_pk_add_f32 v[36:37], v[4:5], v[18:19]
	v_pk_add_f32 v[28:29], v[2:3], v[4:5]
	v_pk_fma_f32 v[2:3], v[36:37], 0.5, v[2:3] op_sel_hi:[1,0,1] neg_lo:[1,0,0] neg_hi:[1,0,0]
	v_pk_add_f32 v[36:37], v[22:23], v[16:17]
	v_pk_add_f32 v[32:33], v[4:5], v[18:19] neg_lo:[0,1] neg_hi:[0,1]
	v_pk_fma_f32 v[0:1], v[36:37], 0.5, v[0:1] op_sel_hi:[1,0,1] neg_lo:[1,0,0] neg_hi:[1,0,0]
	v_pk_add_f32 v[36:37], v[4:5], v[10:11] neg_lo:[0,1] neg_hi:[0,1]
	v_pk_add_f32 v[44:45], v[18:19], v[12:13] neg_lo:[0,1] neg_hi:[0,1]
	v_pk_add_f32 v[4:5], v[10:11], v[4:5] neg_lo:[0,1] neg_hi:[0,1]
	v_pk_add_f32 v[36:37], v[36:37], v[44:45]
	v_pk_mul_f32 v[44:45], v[32:33], s[2:3] op_sel_hi:[1,0]
	v_pk_mul_f32 v[32:33], v[32:33], s[14:15] op_sel_hi:[1,0]
	v_pk_add_f32 v[48:49], v[30:31], v[44:45] op_sel:[0,1] op_sel_hi:[1,0]
	v_pk_add_f32 v[30:31], v[30:31], v[44:45] op_sel:[0,1] op_sel_hi:[1,0] neg_lo:[0,1] neg_hi:[0,1]
	v_pk_add_f32 v[44:45], v[10:11], v[12:13] neg_lo:[0,1] neg_hi:[0,1]
	v_pk_add_f32 v[10:11], v[28:29], v[10:11]
	v_pk_mul_f32 v[54:55], v[44:45], s[14:15] op_sel_hi:[1,0]
	v_pk_mul_f32 v[44:45], v[44:45], s[2:3] op_sel_hi:[1,0]
	v_pk_add_f32 v[30:31], v[30:31], v[54:55] op_sel:[0,1] op_sel_hi:[1,0] neg_lo:[0,1] neg_hi:[0,1]
	v_pk_add_f32 v[48:49], v[48:49], v[54:55] op_sel:[0,1] op_sel_hi:[1,0]
	v_pk_add_f32 v[54:55], v[12:13], v[18:19] neg_lo:[0,1] neg_hi:[0,1]
	s_mov_b32 s3, 0
	v_pk_add_f32 v[4:5], v[4:5], v[54:55]
	v_pk_add_f32 v[54:55], v[2:3], v[44:45] op_sel:[0,1] op_sel_hi:[1,0] neg_lo:[0,1] neg_hi:[0,1]
	v_pk_add_f32 v[2:3], v[2:3], v[44:45] op_sel:[0,1] op_sel_hi:[1,0]
	v_mov_b32_e32 v87, s3
	v_pk_add_f32 v[2:3], v[2:3], v[32:33] op_sel:[0,1] op_sel_hi:[1,0] neg_lo:[0,1] neg_hi:[0,1]
	v_pk_add_f32 v[32:33], v[54:55], v[32:33] op_sel:[0,1] op_sel_hi:[1,0]
	v_mov_b32_e32 v45, v3
	v_mov_b32_e32 v44, v32
	;; [unrolled: 1-line block ×3, first 2 shown]
	v_pk_fma_f32 v[32:33], v[4:5], s[12:13], v[44:45] op_sel_hi:[1,0,1]
	v_lshl_add_u64 v[44:45], v[86:87], 0, 25
	v_pk_fma_f32 v[2:3], v[4:5], s[12:13], v[2:3] op_sel_hi:[1,0,1]
	v_mov_b32_e32 v4, v48
	v_mov_b32_e32 v5, v31
	;; [unrolled: 1-line block ×3, first 2 shown]
	v_pk_add_f32 v[8:9], v[8:9], v[22:23] neg_lo:[0,1] neg_hi:[0,1]
	v_lshl_add_u64 v[48:49], v[86:87], 0, 50
	v_pk_add_f32 v[10:11], v[10:11], v[12:13]
	v_pk_add_f32 v[12:13], v[26:27], v[16:17] neg_lo:[0,1] neg_hi:[0,1]
	v_mul_u32_u24_e32 v16, 5, v44
	v_lshl_add_u32 v107, v16, 3, v40
	v_mul_u32_u24_e32 v16, 5, v48
	v_pk_add_f32 v[8:9], v[8:9], v[12:13]
	v_pk_mul_f32 v[12:13], v[46:47], s[2:3] op_sel_hi:[1,0]
	v_pk_add_f32 v[10:11], v[10:11], v[18:19]
	v_lshl_add_u32 v87, v16, 3, v40
	v_pk_add_f32 v[16:17], v[0:1], v[12:13] op_sel:[0,1] op_sel_hi:[1,0] neg_lo:[0,1] neg_hi:[0,1]
	v_pk_add_f32 v[0:1], v[0:1], v[12:13] op_sel:[0,1] op_sel_hi:[1,0]
	v_pk_mul_f32 v[18:19], v[42:43], s[14:15] op_sel_hi:[1,0]
	v_mov_b32_e32 v39, v53
	v_pk_add_f32 v[0:1], v[0:1], v[18:19] op_sel:[0,1] op_sel_hi:[1,0] neg_lo:[0,1] neg_hi:[0,1]
	v_pk_add_f32 v[16:17], v[16:17], v[18:19] op_sel:[0,1] op_sel_hi:[1,0]
	v_mov_b32_e32 v19, v1
	v_mov_b32_e32 v18, v16
	;; [unrolled: 1-line block ×3, first 2 shown]
	v_pk_fma_f32 v[18:19], v[8:9], s[12:13], v[18:19] op_sel_hi:[1,0,1]
	v_pk_fma_f32 v[0:1], v[8:9], s[12:13], v[0:1] op_sel_hi:[1,0,1]
	ds_write2_b64 v105, v[18:19], v[0:1] offset0:2 offset1:3
	v_pk_fma_f32 v[0:1], v[50:51], s[12:13], v[38:39] op_sel_hi:[1,0,1]
	v_pk_fma_f32 v[4:5], v[36:37], s[12:13], v[4:5] op_sel_hi:[1,0,1]
	;; [unrolled: 1-line block ×3, first 2 shown]
	ds_write_b64 v105, v[0:1] offset:32
	ds_write2_b64 v107, v[10:11], v[4:5] offset1:1
	ds_write2_b64 v107, v[32:33], v[2:3] offset0:2 offset1:3
	ds_write_b64 v107, v[30:31] offset:32
	v_pk_add_f32 v[0:1], v[24:25], v[14:15]
	v_pk_add_f32 v[2:3], v[6:7], v[34:35] neg_lo:[0,1] neg_hi:[0,1]
	v_pk_fma_f32 v[0:1], v[0:1], 0.5, v[20:21] op_sel_hi:[1,0,1] neg_lo:[1,0,0] neg_hi:[1,0,0]
	v_pk_mul_f32 v[4:5], v[2:3], s[2:3] op_sel_hi:[1,0]
	v_pk_add_f32 v[8:9], v[24:25], v[14:15] neg_lo:[0,1] neg_hi:[0,1]
	v_pk_add_f32 v[16:17], v[6:7], v[24:25] neg_lo:[0,1] neg_hi:[0,1]
	;; [unrolled: 1-line block ×3, first 2 shown]
	v_pk_add_f32 v[12:13], v[20:21], v[6:7]
	v_pk_mul_f32 v[10:11], v[8:9], s[14:15] op_sel_hi:[1,0]
	v_pk_add_f32 v[16:17], v[16:17], v[18:19]
	v_pk_add_f32 v[18:19], v[0:1], v[4:5] op_sel:[0,1] op_sel_hi:[1,0]
	v_pk_add_f32 v[0:1], v[0:1], v[4:5] op_sel:[0,1] op_sel_hi:[1,0] neg_lo:[0,1] neg_hi:[0,1]
	v_pk_add_f32 v[12:13], v[12:13], v[24:25]
	v_pk_add_f32 v[0:1], v[0:1], v[10:11] op_sel:[0,1] op_sel_hi:[1,0] neg_lo:[0,1] neg_hi:[0,1]
	v_pk_add_f32 v[4:5], v[18:19], v[10:11] op_sel:[0,1] op_sel_hi:[1,0]
	v_pk_add_f32 v[12:13], v[12:13], v[14:15]
	v_mov_b32_e32 v10, v4
	v_mov_b32_e32 v11, v1
	v_pk_add_f32 v[12:13], v[12:13], v[34:35]
	v_pk_fma_f32 v[10:11], v[16:17], s[12:13], v[10:11] op_sel_hi:[1,0,1]
	v_mov_b32_e32 v1, v5
	ds_write2_b64 v87, v[12:13], v[10:11] offset1:1
	v_pk_add_f32 v[10:11], v[6:7], v[34:35]
	v_pk_mul_f32 v[8:9], v[8:9], s[2:3] op_sel_hi:[1,0]
	v_pk_fma_f32 v[0:1], v[16:17], s[12:13], v[0:1] op_sel_hi:[1,0,1]
	s_movk_i32 s3, 0xcd
	v_pk_fma_f32 v[10:11], v[10:11], 0.5, v[20:21] op_sel_hi:[1,0,1] neg_lo:[1,0,0] neg_hi:[1,0,0]
	v_pk_add_f32 v[6:7], v[24:25], v[6:7] neg_lo:[0,1] neg_hi:[0,1]
	v_pk_add_f32 v[12:13], v[14:15], v[34:35] neg_lo:[0,1] neg_hi:[0,1]
	ds_write_b64 v87, v[0:1] offset:32
	v_mul_lo_u16_sdwa v1, v48, s3 dst_sel:DWORD dst_unused:UNUSED_PAD src0_sel:BYTE_0 src1_sel:DWORD
	v_pk_add_f32 v[6:7], v[6:7], v[12:13]
	v_pk_mul_f32 v[2:3], v[2:3], s[14:15] op_sel_hi:[1,0]
	v_pk_add_f32 v[12:13], v[10:11], v[8:9] op_sel:[0,1] op_sel_hi:[1,0] neg_lo:[0,1] neg_hi:[0,1]
	v_pk_add_f32 v[8:9], v[10:11], v[8:9] op_sel:[0,1] op_sel_hi:[1,0]
	v_lshrrev_b16_e32 v41, 10, v1
	v_pk_add_f32 v[8:9], v[8:9], v[2:3] op_sel:[0,1] op_sel_hi:[1,0] neg_lo:[0,1] neg_hi:[0,1]
	v_pk_add_f32 v[2:3], v[12:13], v[2:3] op_sel:[0,1] op_sel_hi:[1,0]
	v_mul_lo_u16_e32 v1, 5, v41
	v_mov_b32_e32 v10, v2
	v_mov_b32_e32 v11, v9
	;; [unrolled: 1-line block ×4, first 2 shown]
	v_sub_u16_e32 v45, v48, v1
	v_pk_fma_f32 v[10:11], v[6:7], s[12:13], v[10:11] op_sel_hi:[1,0,1]
	v_pk_fma_f32 v[2:3], v[6:7], s[12:13], v[8:9] op_sel_hi:[1,0,1]
	v_lshlrev_b32_sdwa v1, v0, v45 dst_sel:DWORD dst_unused:UNUSED_PAD src0_sel:DWORD src1_sel:BYTE_0
	ds_write2_b64 v87, v[10:11], v[2:3] offset0:2 offset1:3
	s_waitcnt lgkmcnt(0)
	s_barrier
	global_load_dwordx4 v[12:15], v1, s[10:11] offset:16
	global_load_dwordx4 v[4:7], v1, s[10:11]
	v_mul_lo_u16_sdwa v1, v44, s3 dst_sel:DWORD dst_unused:UNUSED_PAD src0_sel:BYTE_0 src1_sel:DWORD
	v_lshrrev_b16_e32 v49, 10, v1
	v_mul_lo_u16_e32 v1, 5, v49
	v_sub_u16_e32 v102, v44, v1
	v_lshlrev_b32_sdwa v16, v0, v102 dst_sel:DWORD dst_unused:UNUSED_PAD src0_sel:DWORD src1_sel:BYTE_0
	global_load_dwordx4 v[0:3], v16, s[10:11]
	global_load_dwordx4 v[8:11], v16, s[10:11] offset:16
	v_mul_lo_u16_sdwa v16, v86, s3 dst_sel:DWORD dst_unused:UNUSED_PAD src0_sel:BYTE_0 src1_sel:DWORD
	v_lshrrev_b16_e32 v106, 10, v16
	v_mul_lo_u16_e32 v16, 5, v106
	v_sub_u16_e32 v134, v86, v16
	v_lshlrev_b16_e32 v16, 2, v134
	v_and_b32_e32 v16, 0xfc, v16
	v_lshlrev_b32_e32 v16, 3, v16
	global_load_dwordx4 v[20:23], v16, s[10:11]
	global_load_dwordx4 v[28:31], v16, s[10:11] offset:16
	ds_read2_b64 v[16:19], v97 offset0:100 offset1:125
	ds_read2_b64 v[24:27], v99 offset0:122 offset1:147
	v_mul_u32_u24_e32 v41, 25, v41
	v_add_u32_sdwa v41, v41, v45 dst_sel:DWORD dst_unused:UNUSED_PAD src0_sel:DWORD src1_sel:BYTE_0
	v_lshlrev_b32_e32 v44, 4, v44
	s_waitcnt vmcnt(4) lgkmcnt(1)
	v_pk_mul_f32 v[32:33], v[18:19], v[4:5] op_sel:[0,1]
	s_nop 0
	v_pk_fma_f32 v[34:35], v[18:19], v[4:5], v[32:33] op_sel:[0,0,1] op_sel_hi:[1,1,0] neg_lo:[0,0,1] neg_hi:[0,0,1]
	v_pk_fma_f32 v[32:33], v[18:19], v[4:5], v[32:33] op_sel:[0,0,1] op_sel_hi:[1,0,0]
	s_waitcnt lgkmcnt(0)
	v_pk_mul_f32 v[18:19], v[26:27], v[12:13] op_sel:[0,1]
	v_mov_b32_e32 v98, v7
	v_pk_fma_f32 v[36:37], v[26:27], v[12:13], v[18:19] op_sel:[0,0,1] op_sel_hi:[1,1,0] neg_lo:[0,0,1] neg_hi:[0,0,1]
	v_pk_fma_f32 v[38:39], v[26:27], v[12:13], v[18:19] op_sel:[0,0,1] op_sel_hi:[1,0,0]
	s_waitcnt vmcnt(3)
	v_pk_mul_f32 v[18:19], v[16:17], v[0:1] op_sel:[0,1]
	s_waitcnt vmcnt(2)
	v_pk_mul_f32 v[26:27], v[24:25], v[8:9] op_sel:[0,1]
	v_pk_fma_f32 v[42:43], v[16:17], v[0:1], v[18:19] op_sel:[0,0,1] op_sel_hi:[1,1,0] neg_lo:[0,0,1] neg_hi:[0,0,1]
	v_pk_fma_f32 v[46:47], v[16:17], v[0:1], v[18:19] op_sel:[0,0,1] op_sel_hi:[1,0,0]
	ds_read2_b64 v[16:19], v97 offset0:150 offset1:175
	v_mov_b32_e32 v96, v3
	v_pk_fma_f32 v[50:51], v[24:25], v[8:9], v[26:27] op_sel:[0,0,1] op_sel_hi:[1,1,0] neg_lo:[0,0,1] neg_hi:[0,0,1]
	v_pk_fma_f32 v[52:53], v[24:25], v[8:9], v[26:27] op_sel:[0,0,1] op_sel_hi:[1,0,0]
	s_waitcnt vmcnt(1)
	v_mov_b32_e32 v94, v23
	s_waitcnt lgkmcnt(0)
	v_pk_mul_f32 v[24:25], v[18:19], v[96:97] op_sel_hi:[1,0]
	v_mov_b32_e32 v104, v11
	v_pk_fma_f32 v[54:55], v[18:19], v[2:3], v[24:25] op_sel:[0,0,1] op_sel_hi:[1,1,0] neg_lo:[0,0,1] neg_hi:[0,0,1]
	v_pk_fma_f32 v[56:57], v[18:19], v[2:3], v[24:25] op_sel:[0,0,1] op_sel_hi:[1,0,0]
	ds_read2_b64 v[24:27], v97 offset0:200 offset1:225
	v_pk_mul_f32 v[18:19], v[16:17], v[94:95] op_sel_hi:[1,0]
	s_waitcnt vmcnt(0)
	v_mov_b32_e32 v100, v31
	v_pk_fma_f32 v[58:59], v[16:17], v[22:23], v[18:19] op_sel:[0,0,1] op_sel_hi:[1,1,0] neg_lo:[0,0,1] neg_hi:[0,0,1]
	v_pk_fma_f32 v[108:109], v[16:17], v[22:23], v[18:19] op_sel:[0,0,1] op_sel_hi:[1,0,0]
	s_waitcnt lgkmcnt(0)
	v_pk_mul_f32 v[16:17], v[24:25], v[98:99] op_sel_hi:[1,0]
	v_mov_b32_e32 v59, v109
	v_pk_fma_f32 v[114:115], v[24:25], v[6:7], v[16:17] op_sel:[0,0,1] op_sel_hi:[1,1,0] neg_lo:[0,0,1] neg_hi:[0,0,1]
	v_pk_fma_f32 v[112:113], v[24:25], v[6:7], v[16:17] op_sel:[0,0,1] op_sel_hi:[1,0,0]
	ds_read2_b64 v[16:19], v101 offset0:44 offset1:69
	v_pk_mul_f32 v[24:25], v[26:27], v[28:29] op_sel:[0,1]
	v_mad_legacy_u16 v32, v106, 25, v134
	v_pk_fma_f32 v[110:111], v[26:27], v[28:29], v[24:25] op_sel:[0,0,1] op_sel_hi:[1,1,0] neg_lo:[0,0,1] neg_hi:[0,0,1]
	v_pk_fma_f32 v[116:117], v[26:27], v[28:29], v[24:25] op_sel:[0,0,1] op_sel_hi:[1,0,0]
	s_waitcnt lgkmcnt(0)
	v_pk_mul_f32 v[24:25], v[18:19], v[104:105] op_sel_hi:[1,0]
	v_mov_b32_e32 v111, v117
	v_pk_fma_f32 v[118:119], v[18:19], v[10:11], v[24:25] op_sel:[0,0,1] op_sel_hi:[1,1,0] neg_lo:[0,0,1] neg_hi:[0,0,1]
	v_pk_fma_f32 v[120:121], v[18:19], v[10:11], v[24:25] op_sel:[0,0,1] op_sel_hi:[1,0,0]
	ds_read2_b64 v[24:27], v97 offset0:50 offset1:75
	v_pk_mul_f32 v[18:19], v[16:17], v[100:101] op_sel_hi:[1,0]
	v_and_b32_e32 v32, 0xff, v32
	v_pk_fma_f32 v[122:123], v[16:17], v[30:31], v[18:19] op_sel:[0,0,1] op_sel_hi:[1,1,0] neg_lo:[0,0,1] neg_hi:[0,0,1]
	v_pk_fma_f32 v[16:17], v[16:17], v[30:31], v[18:19] op_sel:[0,0,1] op_sel_hi:[1,0,0]
	s_waitcnt lgkmcnt(0)
	v_pk_mul_f32 v[18:19], v[26:27], v[20:21] op_sel:[0,1]
	v_mov_b32_e32 v123, v17
	v_pk_fma_f32 v[124:125], v[26:27], v[20:21], v[18:19] op_sel:[0,0,1] op_sel_hi:[1,1,0] neg_lo:[0,0,1] neg_hi:[0,0,1]
	v_pk_fma_f32 v[18:19], v[26:27], v[20:21], v[18:19] op_sel:[0,0,1] op_sel_hi:[1,0,0]
	v_pk_add_f32 v[108:109], v[122:123], v[110:111] neg_lo:[0,1] neg_hi:[0,1]
	v_mov_b32_e32 v125, v19
	ds_read2_b64 v[16:19], v97 offset1:25
	v_pk_add_f32 v[26:27], v[124:125], v[58:59] neg_lo:[0,1] neg_hi:[0,1]
	v_pk_add_f32 v[116:117], v[124:125], v[122:123] neg_lo:[0,1] neg_hi:[0,1]
	v_pk_add_f32 v[26:27], v[26:27], v[108:109]
	v_pk_add_f32 v[108:109], v[58:59], v[110:111]
	v_pk_mul_f32 v[126:127], v[116:117], s[2:3] op_sel_hi:[1,0]
	s_waitcnt lgkmcnt(0)
	v_pk_fma_f32 v[108:109], v[108:109], 0.5, v[16:17] op_sel_hi:[1,0,1] neg_lo:[1,0,0] neg_hi:[1,0,0]
	ds_read_b64 v[134:135], v97 offset:2800
	v_pk_add_f32 v[128:129], v[108:109], v[126:127] op_sel:[0,1] op_sel_hi:[1,0]
	v_pk_add_f32 v[108:109], v[108:109], v[126:127] op_sel:[0,1] op_sel_hi:[1,0] neg_lo:[0,1] neg_hi:[0,1]
	v_pk_add_f32 v[126:127], v[58:59], v[110:111] neg_lo:[0,1] neg_hi:[0,1]
	s_waitcnt lgkmcnt(0)
	v_pk_mul_f32 v[130:131], v[126:127], s[14:15] op_sel_hi:[1,0]
	s_barrier
	v_pk_add_f32 v[132:133], v[108:109], v[130:131] op_sel:[0,1] op_sel_hi:[1,0] neg_lo:[0,1] neg_hi:[0,1]
	v_pk_add_f32 v[128:129], v[128:129], v[130:131] op_sel:[0,1] op_sel_hi:[1,0]
	v_pk_add_f32 v[130:131], v[16:17], v[124:125]
	v_lshl_add_u32 v109, v32, 3, v40
	v_pk_add_f32 v[130:131], v[130:131], v[58:59]
	v_pk_add_f32 v[58:59], v[58:59], v[124:125] neg_lo:[0,1] neg_hi:[0,1]
	v_pk_add_f32 v[130:131], v[130:131], v[110:111]
	v_pk_add_f32 v[124:125], v[124:125], v[122:123]
	v_pk_add_f32 v[110:111], v[110:111], v[122:123] neg_lo:[0,1] neg_hi:[0,1]
	v_pk_fma_f32 v[16:17], v[124:125], 0.5, v[16:17] op_sel_hi:[1,0,1] neg_lo:[1,0,0] neg_hi:[1,0,0]
	v_pk_add_f32 v[58:59], v[58:59], v[110:111]
	v_pk_mul_f32 v[110:111], v[126:127], s[2:3] op_sel_hi:[1,0]
	v_pk_add_f32 v[130:131], v[130:131], v[122:123]
	v_pk_add_f32 v[122:123], v[16:17], v[110:111] op_sel:[0,1] op_sel_hi:[1,0] neg_lo:[0,1] neg_hi:[0,1]
	v_pk_add_f32 v[16:17], v[16:17], v[110:111] op_sel:[0,1] op_sel_hi:[1,0]
	v_pk_mul_f32 v[110:111], v[116:117], s[14:15] op_sel_hi:[1,0]
	v_mov_b32_e32 v137, v133
	v_pk_add_f32 v[16:17], v[16:17], v[110:111] op_sel:[0,1] op_sel_hi:[1,0] neg_lo:[0,1] neg_hi:[0,1]
	v_pk_add_f32 v[110:111], v[122:123], v[110:111] op_sel:[0,1] op_sel_hi:[1,0]
	v_mov_b32_e32 v117, v17
	v_mov_b32_e32 v116, v110
	;; [unrolled: 1-line block ×3, first 2 shown]
	v_pk_fma_f32 v[110:111], v[58:59], s[12:13], v[116:117] op_sel_hi:[1,0,1]
	v_pk_fma_f32 v[16:17], v[58:59], s[12:13], v[16:17] op_sel_hi:[1,0,1]
	v_mov_b32_e32 v133, v129
	v_mov_b32_e32 v136, v128
	ds_write2_b64 v109, v[110:111], v[16:17] offset0:10 offset1:15
	v_mov_b32_e32 v43, v47
	v_mov_b32_e32 v55, v57
	;; [unrolled: 1-line block ×4, first 2 shown]
	v_pk_fma_f32 v[16:17], v[26:27], s[12:13], v[132:133] op_sel_hi:[1,0,1]
	v_pk_fma_f32 v[136:137], v[26:27], s[12:13], v[136:137] op_sel_hi:[1,0,1]
	ds_write_b64 v109, v[16:17] offset:160
	v_pk_add_f32 v[16:17], v[42:43], v[54:55] neg_lo:[0,1] neg_hi:[0,1]
	v_pk_add_f32 v[26:27], v[118:119], v[50:51] neg_lo:[0,1] neg_hi:[0,1]
	;; [unrolled: 1-line block ×3, first 2 shown]
	v_pk_add_f32 v[16:17], v[16:17], v[26:27]
	v_pk_add_f32 v[26:27], v[54:55], v[50:51]
	v_pk_mul_f32 v[52:53], v[46:47], s[2:3] op_sel_hi:[1,0]
	v_pk_fma_f32 v[26:27], v[26:27], 0.5, v[18:19] op_sel_hi:[1,0,1] neg_lo:[1,0,0] neg_hi:[1,0,0]
	v_mul_u32_u24_e32 v32, 25, v49
	v_pk_add_f32 v[56:57], v[26:27], v[52:53] op_sel:[0,1] op_sel_hi:[1,0]
	v_pk_add_f32 v[26:27], v[26:27], v[52:53] op_sel:[0,1] op_sel_hi:[1,0] neg_lo:[0,1] neg_hi:[0,1]
	v_pk_add_f32 v[52:53], v[54:55], v[50:51] neg_lo:[0,1] neg_hi:[0,1]
	v_add_u32_sdwa v32, v32, v102 dst_sel:DWORD dst_unused:UNUSED_PAD src0_sel:DWORD src1_sel:BYTE_0
	v_pk_mul_f32 v[58:59], v[52:53], s[14:15] op_sel_hi:[1,0]
	v_lshl_add_u32 v111, v32, 3, v40
	v_pk_add_f32 v[26:27], v[26:27], v[58:59] op_sel:[0,1] op_sel_hi:[1,0] neg_lo:[0,1] neg_hi:[0,1]
	v_pk_add_f32 v[56:57], v[56:57], v[58:59] op_sel:[0,1] op_sel_hi:[1,0]
	v_pk_add_f32 v[58:59], v[18:19], v[42:43]
	v_mov_b32_e32 v116, v56
	v_pk_add_f32 v[58:59], v[58:59], v[54:55]
	v_mov_b32_e32 v117, v27
	v_pk_add_f32 v[58:59], v[58:59], v[50:51]
	v_pk_fma_f32 v[116:117], v[16:17], s[12:13], v[116:117] op_sel_hi:[1,0,1]
	v_pk_add_f32 v[58:59], v[58:59], v[118:119]
	ds_write2_b64 v109, v[130:131], v[136:137] offset1:5
	ds_write2_b64 v111, v[58:59], v[116:117] offset1:5
	v_pk_add_f32 v[58:59], v[42:43], v[118:119]
	v_pk_add_f32 v[42:43], v[54:55], v[42:43] neg_lo:[0,1] neg_hi:[0,1]
	v_pk_add_f32 v[50:51], v[50:51], v[118:119] neg_lo:[0,1] neg_hi:[0,1]
	v_pk_fma_f32 v[18:19], v[58:59], 0.5, v[18:19] op_sel_hi:[1,0,1] neg_lo:[1,0,0] neg_hi:[1,0,0]
	v_pk_add_f32 v[42:43], v[42:43], v[50:51]
	v_pk_mul_f32 v[50:51], v[52:53], s[2:3] op_sel_hi:[1,0]
	v_pk_mul_f32 v[46:47], v[46:47], s[14:15] op_sel_hi:[1,0]
	v_pk_add_f32 v[52:53], v[18:19], v[50:51] op_sel:[0,1] op_sel_hi:[1,0] neg_lo:[0,1] neg_hi:[0,1]
	v_pk_add_f32 v[18:19], v[18:19], v[50:51] op_sel:[0,1] op_sel_hi:[1,0]
	v_mov_b32_e32 v120, v15
	v_pk_add_f32 v[18:19], v[18:19], v[46:47] op_sel:[0,1] op_sel_hi:[1,0] neg_lo:[0,1] neg_hi:[0,1]
	v_pk_add_f32 v[46:47], v[52:53], v[46:47] op_sel:[0,1] op_sel_hi:[1,0]
	v_mov_b32_e32 v51, v19
	v_mov_b32_e32 v50, v46
	;; [unrolled: 1-line block ×3, first 2 shown]
	v_pk_fma_f32 v[46:47], v[42:43], s[12:13], v[50:51] op_sel_hi:[1,0,1]
	v_pk_fma_f32 v[18:19], v[42:43], s[12:13], v[18:19] op_sel_hi:[1,0,1]
	ds_write2_b64 v111, v[46:47], v[18:19] offset0:10 offset1:15
	v_pk_mul_f32 v[18:19], v[134:135], v[120:121] op_sel_hi:[1,0]
	v_mov_b32_e32 v35, v33
	v_pk_fma_f32 v[32:33], v[134:135], v[14:15], v[18:19] op_sel:[0,0,1] op_sel_hi:[1,1,0] neg_lo:[0,0,1] neg_hi:[0,0,1]
	v_pk_fma_f32 v[18:19], v[134:135], v[14:15], v[18:19] op_sel:[0,0,1] op_sel_hi:[1,0,0]
	v_mov_b32_e32 v27, v57
	v_mov_b32_e32 v115, v113
	;; [unrolled: 1-line block ×4, first 2 shown]
	v_pk_fma_f32 v[16:17], v[16:17], s[12:13], v[26:27] op_sel_hi:[1,0,1]
	ds_write_b64 v111, v[16:17] offset:160
	v_pk_add_f32 v[16:17], v[34:35], v[114:115] neg_lo:[0,1] neg_hi:[0,1]
	v_pk_add_f32 v[18:19], v[32:33], v[36:37] neg_lo:[0,1] neg_hi:[0,1]
	;; [unrolled: 1-line block ×3, first 2 shown]
	v_pk_add_f32 v[16:17], v[16:17], v[18:19]
	v_pk_add_f32 v[18:19], v[114:115], v[36:37]
	v_pk_mul_f32 v[38:39], v[26:27], s[2:3] op_sel_hi:[1,0]
	v_pk_fma_f32 v[18:19], v[18:19], 0.5, v[24:25] op_sel_hi:[1,0,1] neg_lo:[1,0,0] neg_hi:[1,0,0]
	v_lshl_add_u32 v113, v41, 3, v40
	v_pk_add_f32 v[42:43], v[18:19], v[38:39] op_sel:[0,1] op_sel_hi:[1,0]
	v_pk_add_f32 v[18:19], v[18:19], v[38:39] op_sel:[0,1] op_sel_hi:[1,0] neg_lo:[0,1] neg_hi:[0,1]
	v_pk_add_f32 v[38:39], v[114:115], v[36:37] neg_lo:[0,1] neg_hi:[0,1]
	v_pk_mul_f32 v[26:27], v[26:27], s[14:15] op_sel_hi:[1,0]
	v_pk_mul_f32 v[46:47], v[38:39], s[14:15] op_sel_hi:[1,0]
	v_lshlrev_b32_e32 v41, 5, v86
	v_pk_add_f32 v[18:19], v[18:19], v[46:47] op_sel:[0,1] op_sel_hi:[1,0] neg_lo:[0,1] neg_hi:[0,1]
	v_pk_add_f32 v[42:43], v[42:43], v[46:47] op_sel:[0,1] op_sel_hi:[1,0]
	v_pk_add_f32 v[46:47], v[24:25], v[34:35]
	v_mov_b32_e32 v50, v42
	v_pk_add_f32 v[46:47], v[46:47], v[114:115]
	v_mov_b32_e32 v51, v19
	v_pk_add_f32 v[46:47], v[46:47], v[36:37]
	v_pk_fma_f32 v[50:51], v[16:17], s[12:13], v[50:51] op_sel_hi:[1,0,1]
	v_pk_add_f32 v[46:47], v[46:47], v[32:33]
	ds_write2_b64 v113, v[46:47], v[50:51] offset1:5
	v_pk_add_f32 v[46:47], v[34:35], v[32:33]
	v_pk_add_f32 v[34:35], v[114:115], v[34:35] neg_lo:[0,1] neg_hi:[0,1]
	v_pk_add_f32 v[32:33], v[36:37], v[32:33] neg_lo:[0,1] neg_hi:[0,1]
	v_pk_fma_f32 v[24:25], v[46:47], 0.5, v[24:25] op_sel_hi:[1,0,1] neg_lo:[1,0,0] neg_hi:[1,0,0]
	v_pk_add_f32 v[32:33], v[34:35], v[32:33]
	v_pk_mul_f32 v[34:35], v[38:39], s[2:3] op_sel_hi:[1,0]
	v_mov_b32_e32 v19, v43
	v_pk_add_f32 v[36:37], v[24:25], v[34:35] op_sel:[0,1] op_sel_hi:[1,0] neg_lo:[0,1] neg_hi:[0,1]
	v_pk_add_f32 v[24:25], v[24:25], v[34:35] op_sel:[0,1] op_sel_hi:[1,0]
	v_pk_fma_f32 v[16:17], v[16:17], s[12:13], v[18:19] op_sel_hi:[1,0,1]
	v_pk_add_f32 v[24:25], v[24:25], v[26:27] op_sel:[0,1] op_sel_hi:[1,0] neg_lo:[0,1] neg_hi:[0,1]
	v_pk_add_f32 v[26:27], v[36:37], v[26:27] op_sel:[0,1] op_sel_hi:[1,0]
	ds_write_b64 v113, v[16:17] offset:160
	v_mov_b32_e32 v16, 41
	v_mov_b32_e32 v34, v26
	;; [unrolled: 1-line block ×4, first 2 shown]
	v_mul_lo_u16_sdwa v16, v48, v16 dst_sel:DWORD dst_unused:UNUSED_PAD src0_sel:BYTE_0 src1_sel:DWORD
	v_pk_fma_f32 v[26:27], v[32:33], s[12:13], v[34:35] op_sel_hi:[1,0,1]
	v_pk_fma_f32 v[24:25], v[32:33], s[12:13], v[24:25] op_sel_hi:[1,0,1]
	v_lshrrev_b16_e32 v16, 10, v16
	ds_write2_b64 v113, v[26:27], v[24:25] offset0:10 offset1:15
	s_waitcnt lgkmcnt(0)
	s_barrier
	v_mul_lo_u16_e32 v24, 25, v16
	global_load_dwordx4 v[16:19], v41, s[10:11] offset:176
	v_sub_u16_e32 v24, v48, v24
	v_and_b32_e32 v45, 0xff, v24
	v_lshlrev_b32_e32 v42, 5, v45
	global_load_dwordx4 v[24:27], v42, s[10:11] offset:160
	global_load_dwordx4 v[32:35], v41, s[10:11] offset:160
	;; [unrolled: 1-line block ×3, first 2 shown]
	ds_read2_b64 v[50:53], v97 offset0:200 offset1:225
	ds_read_b64 v[158:159], v97 offset:2800
	v_lshlrev_b32_e32 v121, 4, v86
	v_lshlrev_b32_e32 v48, 4, v48
	s_waitcnt vmcnt(3) lgkmcnt(1)
	v_pk_mul_f32 v[42:43], v[52:53], v[16:17] op_sel:[0,1]
	s_nop 0
	v_pk_fma_f32 v[46:47], v[52:53], v[16:17], v[42:43] op_sel:[0,0,1] op_sel_hi:[1,1,0] neg_lo:[0,0,1] neg_hi:[0,0,1]
	v_pk_fma_f32 v[42:43], v[52:53], v[16:17], v[42:43] op_sel:[0,0,1] op_sel_hi:[1,0,0]
	ds_read2_b64 v[52:55], v97 offset0:100 offset1:125
	s_waitcnt vmcnt(2)
	v_mov_b32_e32 v106, v27
	v_pk_mul_f32 v[56:57], v[50:51], v[106:107] op_sel_hi:[1,0]
	s_waitcnt vmcnt(1)
	v_mov_b32_e32 v102, v35
	v_pk_fma_f32 v[116:117], v[50:51], v[26:27], v[56:57] op_sel:[0,0,1] op_sel_hi:[1,1,0] neg_lo:[0,0,1] neg_hi:[0,0,1]
	v_pk_fma_f32 v[114:115], v[50:51], v[26:27], v[56:57] op_sel:[0,0,1] op_sel_hi:[1,0,0]
	s_waitcnt lgkmcnt(0)
	v_pk_mul_f32 v[50:51], v[54:55], v[24:25] op_sel:[0,1]
	v_mov_b32_e32 v108, v19
	v_pk_fma_f32 v[118:119], v[54:55], v[24:25], v[50:51] op_sel:[0,0,1] op_sel_hi:[1,1,0] neg_lo:[0,0,1] neg_hi:[0,0,1]
	v_pk_fma_f32 v[122:123], v[54:55], v[24:25], v[50:51] op_sel:[0,0,1] op_sel_hi:[1,0,0]
	ds_read2_b64 v[54:57], v97 offset0:150 offset1:175
	v_pk_mul_f32 v[50:51], v[52:53], v[32:33] op_sel:[0,1]
	v_mov_b32_e32 v47, v43
	v_pk_fma_f32 v[124:125], v[52:53], v[32:33], v[50:51] op_sel:[0,0,1] op_sel_hi:[1,1,0] neg_lo:[0,0,1] neg_hi:[0,0,1]
	v_pk_fma_f32 v[126:127], v[52:53], v[32:33], v[50:51] op_sel:[0,0,1] op_sel_hi:[1,0,0]
	ds_read2_b64 v[50:53], v99 offset0:122 offset1:147
	s_waitcnt lgkmcnt(1)
	v_pk_mul_f32 v[58:59], v[54:55], v[102:103] op_sel_hi:[1,0]
	v_mov_b32_e32 v125, v127
	v_pk_fma_f32 v[128:129], v[54:55], v[34:35], v[58:59] op_sel:[0,0,1] op_sel_hi:[1,1,0] neg_lo:[0,0,1] neg_hi:[0,0,1]
	v_pk_fma_f32 v[130:131], v[54:55], v[34:35], v[58:59] op_sel:[0,0,1] op_sel_hi:[1,0,0]
	v_pk_mul_f32 v[54:55], v[56:57], v[102:103] op_sel_hi:[1,0]
	v_mov_b32_e32 v129, v131
	v_pk_fma_f32 v[132:133], v[56:57], v[34:35], v[54:55] op_sel:[0,0,1] op_sel_hi:[1,1,0] neg_lo:[0,0,1] neg_hi:[0,0,1]
	v_pk_fma_f32 v[134:135], v[56:57], v[34:35], v[54:55] op_sel:[0,0,1] op_sel_hi:[1,0,0]
	s_waitcnt vmcnt(0) lgkmcnt(0)
	v_pk_mul_f32 v[54:55], v[52:53], v[36:37] op_sel:[0,1]
	v_pk_mul_f32 v[56:57], v[50:51], v[16:17] op_sel:[0,1]
	v_pk_fma_f32 v[136:137], v[52:53], v[36:37], v[54:55] op_sel:[0,0,1] op_sel_hi:[1,1,0] neg_lo:[0,0,1] neg_hi:[0,0,1]
	v_pk_fma_f32 v[138:139], v[52:53], v[36:37], v[54:55] op_sel:[0,0,1] op_sel_hi:[1,0,0]
	ds_read2_b64 v[52:55], v101 offset0:44 offset1:69
	v_pk_fma_f32 v[140:141], v[50:51], v[16:17], v[56:57] op_sel:[0,0,1] op_sel_hi:[1,1,0] neg_lo:[0,0,1] neg_hi:[0,0,1]
	v_pk_fma_f32 v[142:143], v[50:51], v[16:17], v[56:57] op_sel:[0,0,1] op_sel_hi:[1,0,0]
	ds_read2_b64 v[56:59], v97 offset0:50 offset1:75
	v_mov_b32_e32 v133, v135
	s_waitcnt lgkmcnt(1)
	v_pk_mul_f32 v[50:51], v[52:53], v[108:109] op_sel_hi:[1,0]
	v_mov_b32_e32 v141, v143
	v_pk_fma_f32 v[144:145], v[52:53], v[18:19], v[50:51] op_sel:[0,0,1] op_sel_hi:[1,1,0] neg_lo:[0,0,1] neg_hi:[0,0,1]
	v_pk_fma_f32 v[50:51], v[52:53], v[18:19], v[50:51] op_sel:[0,0,1] op_sel_hi:[1,0,0]
	v_pk_mul_f32 v[52:53], v[54:55], v[108:109] op_sel_hi:[1,0]
	v_mov_b32_e32 v145, v51
	v_pk_fma_f32 v[146:147], v[54:55], v[18:19], v[52:53] op_sel:[0,0,1] op_sel_hi:[1,1,0] neg_lo:[0,0,1] neg_hi:[0,0,1]
	v_pk_fma_f32 v[54:55], v[54:55], v[18:19], v[52:53] op_sel:[0,0,1] op_sel_hi:[1,0,0]
	s_waitcnt lgkmcnt(0)
	v_pk_mul_f32 v[52:53], v[58:59], v[32:33] op_sel:[0,1]
	v_mov_b32_e32 v147, v55
	v_pk_fma_f32 v[148:149], v[58:59], v[32:33], v[52:53] op_sel:[0,0,1] op_sel_hi:[1,1,0] neg_lo:[0,0,1] neg_hi:[0,0,1]
	v_pk_fma_f32 v[52:53], v[58:59], v[32:33], v[52:53] op_sel:[0,0,1] op_sel_hi:[1,0,0]
	v_pk_add_f32 v[58:59], v[144:145], v[46:47] neg_lo:[0,1] neg_hi:[0,1]
	v_mov_b32_e32 v149, v53
	ds_read2_b64 v[50:53], v97 offset1:25
	v_pk_add_f32 v[42:43], v[148:149], v[128:129] neg_lo:[0,1] neg_hi:[0,1]
	v_pk_add_f32 v[130:131], v[148:149], v[144:145] neg_lo:[0,1] neg_hi:[0,1]
	v_pk_add_f32 v[42:43], v[42:43], v[58:59]
	v_pk_add_f32 v[58:59], v[128:129], v[46:47]
	v_pk_mul_f32 v[150:151], v[130:131], s[2:3] op_sel_hi:[1,0]
	s_waitcnt lgkmcnt(0)
	v_pk_fma_f32 v[58:59], v[58:59], 0.5, v[50:51] op_sel_hi:[1,0,1] neg_lo:[1,0,0] neg_hi:[1,0,0]
	s_nop 0
	v_pk_add_f32 v[152:153], v[58:59], v[150:151] op_sel:[0,1] op_sel_hi:[1,0]
	v_pk_add_f32 v[58:59], v[58:59], v[150:151] op_sel:[0,1] op_sel_hi:[1,0] neg_lo:[0,1] neg_hi:[0,1]
	v_pk_add_f32 v[150:151], v[128:129], v[46:47] neg_lo:[0,1] neg_hi:[0,1]
	s_barrier
	v_pk_mul_f32 v[154:155], v[150:151], s[14:15] op_sel_hi:[1,0]
	s_nop 0
	v_pk_add_f32 v[58:59], v[58:59], v[154:155] op_sel:[0,1] op_sel_hi:[1,0] neg_lo:[0,1] neg_hi:[0,1]
	v_pk_add_f32 v[152:153], v[152:153], v[154:155] op_sel:[0,1] op_sel_hi:[1,0]
	v_pk_add_f32 v[154:155], v[50:51], v[148:149]
	v_mov_b32_e32 v156, v152
	v_pk_add_f32 v[154:155], v[154:155], v[128:129]
	v_pk_add_f32 v[128:129], v[128:129], v[148:149] neg_lo:[0,1] neg_hi:[0,1]
	v_pk_add_f32 v[154:155], v[154:155], v[46:47]
	v_pk_add_f32 v[148:149], v[148:149], v[144:145]
	v_pk_add_f32 v[46:47], v[46:47], v[144:145] neg_lo:[0,1] neg_hi:[0,1]
	v_pk_fma_f32 v[50:51], v[148:149], 0.5, v[50:51] op_sel_hi:[1,0,1] neg_lo:[1,0,0] neg_hi:[1,0,0]
	v_pk_add_f32 v[46:47], v[128:129], v[46:47]
	v_pk_mul_f32 v[128:129], v[150:151], s[2:3] op_sel_hi:[1,0]
	v_pk_add_f32 v[154:155], v[154:155], v[144:145]
	v_pk_add_f32 v[144:145], v[50:51], v[128:129] op_sel:[0,1] op_sel_hi:[1,0] neg_lo:[0,1] neg_hi:[0,1]
	v_pk_add_f32 v[50:51], v[50:51], v[128:129] op_sel:[0,1] op_sel_hi:[1,0]
	v_pk_mul_f32 v[128:129], v[130:131], s[14:15] op_sel_hi:[1,0]
	v_mov_b32_e32 v157, v59
	v_pk_add_f32 v[50:51], v[50:51], v[128:129] op_sel:[0,1] op_sel_hi:[1,0] neg_lo:[0,1] neg_hi:[0,1]
	v_pk_add_f32 v[128:129], v[144:145], v[128:129] op_sel:[0,1] op_sel_hi:[1,0]
	v_mov_b32_e32 v131, v51
	v_mov_b32_e32 v130, v128
	;; [unrolled: 1-line block ×3, first 2 shown]
	v_pk_fma_f32 v[128:129], v[46:47], s[12:13], v[130:131] op_sel_hi:[1,0,1]
	v_pk_fma_f32 v[46:47], v[46:47], s[12:13], v[50:51] op_sel_hi:[1,0,1]
	ds_write2_b64 v97, v[128:129], v[46:47] offset0:50 offset1:75
	v_pk_add_f32 v[46:47], v[52:53], v[124:125]
	v_mov_b32_e32 v59, v153
	v_pk_add_f32 v[46:47], v[46:47], v[132:133]
	v_pk_fma_f32 v[156:157], v[42:43], s[12:13], v[156:157] op_sel_hi:[1,0,1]
	v_pk_add_f32 v[46:47], v[46:47], v[140:141]
	v_pk_fma_f32 v[42:43], v[42:43], s[12:13], v[58:59] op_sel_hi:[1,0,1]
	v_pk_add_f32 v[46:47], v[46:47], v[146:147]
	ds_write2_b64 v97, v[42:43], v[46:47] offset0:100 offset1:125
	v_pk_add_f32 v[42:43], v[132:133], v[140:141]
	v_pk_add_f32 v[46:47], v[124:125], v[146:147]
	v_pk_fma_f32 v[42:43], v[42:43], 0.5, v[52:53] op_sel_hi:[1,0,1] neg_lo:[1,0,0] neg_hi:[1,0,0]
	v_pk_fma_f32 v[46:47], v[46:47], 0.5, v[52:53] op_sel_hi:[1,0,1] neg_lo:[1,0,0] neg_hi:[1,0,0]
	v_pk_add_f32 v[50:51], v[124:125], v[132:133] neg_lo:[0,1] neg_hi:[0,1]
	v_pk_add_f32 v[52:53], v[146:147], v[140:141] neg_lo:[0,1] neg_hi:[0,1]
	v_pk_add_f32 v[54:55], v[132:133], v[124:125] neg_lo:[0,1] neg_hi:[0,1]
	v_pk_add_f32 v[50:51], v[50:51], v[52:53]
	v_pk_add_f32 v[52:53], v[124:125], v[146:147] neg_lo:[0,1] neg_hi:[0,1]
	v_pk_add_f32 v[58:59], v[132:133], v[140:141] neg_lo:[0,1] neg_hi:[0,1]
	;; [unrolled: 1-line block ×3, first 2 shown]
	v_pk_fma_f32 v[126:127], v[58:59], s[2:3], v[46:47] op_sel:[1,0,0] op_sel_hi:[0,0,1]
	v_pk_add_f32 v[54:55], v[54:55], v[124:125]
	v_pk_fma_f32 v[124:125], v[52:53], s[2:3], v[42:43] op_sel:[1,0,0] op_sel_hi:[0,0,1] neg_lo:[1,0,0] neg_hi:[1,0,0]
	v_pk_fma_f32 v[42:43], v[52:53], s[2:3], v[42:43] op_sel:[1,0,0] op_sel_hi:[0,0,1]
	v_pk_fma_f32 v[46:47], v[58:59], s[2:3], v[46:47] op_sel:[1,0,0] op_sel_hi:[0,0,1] neg_lo:[1,0,0] neg_hi:[1,0,0]
	v_pk_fma_f32 v[42:43], v[58:59], s[14:15], v[42:43] op_sel:[1,0,0] op_sel_hi:[0,0,1]
	;; [unrolled: 2-line block ×3, first 2 shown]
	v_pk_fma_f32 v[52:53], v[52:53], s[14:15], v[126:127] op_sel:[1,0,0] op_sel_hi:[0,0,1] neg_lo:[1,0,0] neg_hi:[1,0,0]
	v_mov_b32_e32 v59, v43
	v_mov_b32_e32 v43, v125
	;; [unrolled: 1-line block ×4, first 2 shown]
	v_pk_fma_f32 v[42:43], v[50:51], s[12:13], v[42:43] op_sel_hi:[1,0,1]
	v_pk_fma_f32 v[46:47], v[54:55], s[12:13], v[46:47] op_sel_hi:[1,0,1]
	v_mov_b32_e32 v58, v124
	v_mov_b32_e32 v124, v52
	ds_write2_b64 v97, v[42:43], v[46:47] offset0:150 offset1:175
	v_pk_fma_f32 v[42:43], v[50:51], s[12:13], v[58:59] op_sel_hi:[1,0,1]
	v_pk_fma_f32 v[46:47], v[54:55], s[12:13], v[124:125] op_sel_hi:[1,0,1]
	v_mov_b32_e32 v122, v39
	ds_write2_b64 v97, v[46:47], v[42:43] offset0:200 offset1:225
	v_pk_mul_f32 v[42:43], v[158:159], v[122:123] op_sel_hi:[1,0]
	v_mov_b32_e32 v119, v123
	v_pk_fma_f32 v[46:47], v[158:159], v[38:39], v[42:43] op_sel:[0,0,1] op_sel_hi:[1,1,0] neg_lo:[0,0,1] neg_hi:[0,0,1]
	v_pk_fma_f32 v[42:43], v[158:159], v[38:39], v[42:43] op_sel:[0,0,1] op_sel_hi:[1,0,0]
	v_mov_b32_e32 v117, v115
	v_mov_b32_e32 v137, v139
	;; [unrolled: 1-line block ×3, first 2 shown]
	v_pk_add_f32 v[42:43], v[118:119], v[116:117] neg_lo:[0,1] neg_hi:[0,1]
	v_pk_add_f32 v[50:51], v[46:47], v[136:137] neg_lo:[0,1] neg_hi:[0,1]
	v_pk_add_f32 v[52:53], v[118:119], v[46:47] neg_lo:[0,1] neg_hi:[0,1]
	v_pk_add_f32 v[42:43], v[42:43], v[50:51]
	v_pk_add_f32 v[50:51], v[116:117], v[136:137]
	v_pk_mul_f32 v[54:55], v[52:53], s[2:3] op_sel_hi:[1,0]
	v_pk_fma_f32 v[50:51], v[50:51], 0.5, v[56:57] op_sel_hi:[1,0,1] neg_lo:[1,0,0] neg_hi:[1,0,0]
	v_lshl_add_u32 v19, v45, 3, v40
	v_pk_add_f32 v[58:59], v[50:51], v[54:55] op_sel:[0,1] op_sel_hi:[1,0]
	v_pk_add_f32 v[50:51], v[50:51], v[54:55] op_sel:[0,1] op_sel_hi:[1,0] neg_lo:[0,1] neg_hi:[0,1]
	v_pk_add_f32 v[54:55], v[116:117], v[136:137] neg_lo:[0,1] neg_hi:[0,1]
	v_pk_add_f32 v[40:41], v[56:57], v[118:119]
	v_pk_mul_f32 v[114:115], v[54:55], s[14:15] op_sel_hi:[1,0]
	v_pk_add_f32 v[40:41], v[40:41], v[116:117]
	v_pk_add_f32 v[50:51], v[50:51], v[114:115] op_sel:[0,1] op_sel_hi:[1,0] neg_lo:[0,1] neg_hi:[0,1]
	v_pk_add_f32 v[58:59], v[58:59], v[114:115] op_sel:[0,1] op_sel_hi:[1,0]
	v_pk_add_f32 v[40:41], v[40:41], v[136:137]
	v_mov_b32_e32 v114, v58
	v_mov_b32_e32 v115, v51
	v_pk_add_f32 v[40:41], v[40:41], v[46:47]
	v_pk_fma_f32 v[124:125], v[42:43], s[12:13], v[114:115] op_sel_hi:[1,0,1]
	v_add_u32_e32 v115, 0x400, v19
	ds_write2_b64 v97, v[154:155], v[156:157] offset1:25
	ds_write2_b64 v115, v[40:41], v[124:125] offset0:122 offset1:147
	v_pk_add_f32 v[40:41], v[118:119], v[46:47]
	v_pk_add_f32 v[46:47], v[136:137], v[46:47] neg_lo:[0,1] neg_hi:[0,1]
	v_pk_fma_f32 v[40:41], v[40:41], 0.5, v[56:57] op_sel_hi:[1,0,1] neg_lo:[1,0,0] neg_hi:[1,0,0]
	v_pk_add_f32 v[56:57], v[116:117], v[118:119] neg_lo:[0,1] neg_hi:[0,1]
	v_pk_mul_f32 v[54:55], v[54:55], s[2:3] op_sel_hi:[1,0]
	v_pk_add_f32 v[46:47], v[56:57], v[46:47]
	v_pk_add_f32 v[56:57], v[40:41], v[54:55] op_sel:[0,1] op_sel_hi:[1,0] neg_lo:[0,1] neg_hi:[0,1]
	v_pk_add_f32 v[40:41], v[40:41], v[54:55] op_sel:[0,1] op_sel_hi:[1,0]
	v_pk_mul_f32 v[52:53], v[52:53], s[14:15] op_sel_hi:[1,0]
	v_add_u32_e32 v117, 0x800, v19
	v_pk_add_f32 v[40:41], v[40:41], v[52:53] op_sel:[0,1] op_sel_hi:[1,0] neg_lo:[0,1] neg_hi:[0,1]
	v_pk_add_f32 v[52:53], v[56:57], v[52:53] op_sel:[0,1] op_sel_hi:[1,0]
	v_mov_b32_e32 v55, v41
	v_mov_b32_e32 v54, v52
	;; [unrolled: 1-line block ×3, first 2 shown]
	v_pk_fma_f32 v[52:53], v[46:47], s[12:13], v[54:55] op_sel_hi:[1,0,1]
	v_pk_fma_f32 v[40:41], v[46:47], s[12:13], v[40:41] op_sel_hi:[1,0,1]
	v_mov_b32_e32 v51, v59
	ds_write2_b64 v117, v[52:53], v[40:41] offset0:44 offset1:69
	v_pk_fma_f32 v[40:41], v[42:43], s[12:13], v[50:51] op_sel_hi:[1,0,1]
	ds_write_b64 v19, v[40:41] offset:2800
	s_waitcnt lgkmcnt(0)
	s_barrier
	global_load_dwordx4 v[40:43], v121, s[10:11] offset:960
	v_add_u32_e32 v52, 0x4b0, v121
	global_load_dwordx4 v[52:55], v52, s[10:11] offset:960
	ds_read2_b64 v[56:59], v99 offset0:122 offset1:147
	global_load_dwordx4 v[44:47], v44, s[10:11] offset:960
	ds_read2_b64 v[124:127], v97 offset0:150 offset1:175
	global_load_dwordx4 v[48:51], v48, s[10:11] offset:960
	s_waitcnt vmcnt(3)
	v_mov_b32_e32 v116, v43
	s_waitcnt lgkmcnt(1)
	v_pk_mul_f32 v[118:119], v[56:57], v[116:117] op_sel_hi:[1,0]
	s_waitcnt vmcnt(2)
	v_mov_b32_e32 v112, v55
	v_pk_fma_f32 v[130:131], v[56:57], v[42:43], v[118:119] op_sel:[0,0,1] op_sel_hi:[1,1,0] neg_lo:[0,0,1] neg_hi:[0,0,1]
	s_waitcnt vmcnt(1)
	v_mov_b32_e32 v114, v47
	v_pk_fma_f32 v[118:119], v[56:57], v[42:43], v[118:119] op_sel:[0,0,1] op_sel_hi:[1,0,0]
	v_pk_mul_f32 v[56:57], v[58:59], v[114:115] op_sel_hi:[1,0]
	s_waitcnt vmcnt(0)
	v_mov_b32_e32 v110, v51
	v_pk_fma_f32 v[134:135], v[58:59], v[46:47], v[56:57] op_sel:[0,0,1] op_sel_hi:[1,1,0] neg_lo:[0,0,1] neg_hi:[0,0,1]
	v_pk_fma_f32 v[128:129], v[58:59], v[46:47], v[56:57] op_sel:[0,0,1] op_sel_hi:[1,0,0]
	s_waitcnt lgkmcnt(0)
	v_pk_mul_f32 v[56:57], v[124:125], v[44:45] op_sel:[0,1]
	v_add_u32_e32 v43, 0x640, v121
	v_pk_fma_f32 v[136:137], v[124:125], v[44:45], v[56:57] op_sel:[0,0,1] op_sel_hi:[1,1,0] neg_lo:[0,0,1] neg_hi:[0,0,1]
	v_pk_fma_f32 v[132:133], v[124:125], v[44:45], v[56:57] op_sel:[0,0,1] op_sel_hi:[1,0,0]
	ds_read2_b64 v[56:59], v101 offset0:44 offset1:69
	v_pk_mul_f32 v[124:125], v[126:127], v[48:49] op_sel:[0,1]
	v_mov_b32_e32 v135, v129
	v_pk_fma_f32 v[138:139], v[126:127], v[48:49], v[124:125] op_sel:[0,0,1] op_sel_hi:[1,1,0] neg_lo:[0,0,1] neg_hi:[0,0,1]
	v_pk_fma_f32 v[140:141], v[126:127], v[48:49], v[124:125] op_sel:[0,0,1] op_sel_hi:[1,0,0]
	s_waitcnt lgkmcnt(0)
	v_pk_mul_f32 v[124:125], v[56:57], v[110:111] op_sel_hi:[1,0]
	v_mov_b32_e32 v131, v119
	v_pk_fma_f32 v[142:143], v[56:57], v[50:51], v[124:125] op_sel:[0,0,1] op_sel_hi:[1,1,0] neg_lo:[0,0,1] neg_hi:[0,0,1]
	v_pk_fma_f32 v[144:145], v[56:57], v[50:51], v[124:125] op_sel:[0,0,1] op_sel_hi:[1,0,0]
	ds_read2_b64 v[124:127], v97 offset0:200 offset1:225
	v_pk_mul_f32 v[56:57], v[58:59], v[112:113] op_sel_hi:[1,0]
	v_mov_b32_e32 v137, v133
	v_pk_fma_f32 v[146:147], v[58:59], v[54:55], v[56:57] op_sel:[0,0,1] op_sel_hi:[1,1,0] neg_lo:[0,0,1] neg_hi:[0,0,1]
	v_pk_fma_f32 v[148:149], v[58:59], v[54:55], v[56:57] op_sel:[0,0,1] op_sel_hi:[1,0,0]
	s_waitcnt lgkmcnt(0)
	v_pk_mul_f32 v[56:57], v[124:125], v[52:53] op_sel:[0,1]
	v_mov_b32_e32 v139, v141
	v_pk_fma_f32 v[150:151], v[124:125], v[52:53], v[56:57] op_sel:[0,0,1] op_sel_hi:[1,1,0] neg_lo:[0,0,1] neg_hi:[0,0,1]
	v_pk_fma_f32 v[152:153], v[124:125], v[52:53], v[56:57] op_sel:[0,0,1] op_sel_hi:[1,0,0]
	global_load_dwordx4 v[56:59], v43, s[10:11] offset:960
	s_mov_b32 s10, 0x3f5db3d7
	v_mov_b32_e32 v143, v145
	v_mov_b32_e32 v151, v153
	;; [unrolled: 1-line block ×3, first 2 shown]
	s_waitcnt vmcnt(0)
	v_pk_mul_f32 v[124:125], v[126:127], v[56:57] op_sel:[0,1]
	s_nop 0
	v_pk_fma_f32 v[154:155], v[126:127], v[56:57], v[124:125] op_sel:[0,0,1] op_sel_hi:[1,1,0] neg_lo:[0,0,1] neg_hi:[0,0,1]
	v_pk_fma_f32 v[156:157], v[126:127], v[56:57], v[124:125] op_sel:[0,0,1] op_sel_hi:[1,0,0]
	ds_read2_b64 v[124:127], v97 offset0:100 offset1:125
	v_mov_b32_e32 v155, v157
	s_waitcnt lgkmcnt(0)
	v_pk_mul_f32 v[158:159], v[126:127], v[40:41] op_sel:[0,1]
	s_nop 0
	v_pk_fma_f32 v[160:161], v[126:127], v[40:41], v[158:159] op_sel:[0,0,1] op_sel_hi:[1,1,0] neg_lo:[0,0,1] neg_hi:[0,0,1]
	v_pk_fma_f32 v[126:127], v[126:127], v[40:41], v[158:159] op_sel:[0,0,1] op_sel_hi:[1,0,0]
	s_nop 0
	v_mov_b32_e32 v161, v127
	ds_read2_b64 v[126:129], v97 offset1:25
	v_pk_add_f32 v[132:133], v[160:161], v[130:131]
	s_waitcnt lgkmcnt(0)
	v_pk_add_f32 v[118:119], v[126:127], v[160:161]
	s_nop 0
	v_pk_add_f32 v[118:119], v[118:119], v[130:131]
	v_pk_add_f32 v[130:131], v[160:161], v[130:131] neg_lo:[0,1] neg_hi:[0,1]
	v_pk_fma_f32 v[126:127], v[132:133], 0.5, v[126:127] op_sel_hi:[1,0,1] neg_lo:[1,0,0] neg_hi:[1,0,0]
	v_pk_mul_f32 v[130:131], v[130:131], s[10:11] op_sel_hi:[1,0]
	s_nop 0
	v_pk_add_f32 v[158:159], v[126:127], v[130:131] op_sel:[0,1] op_sel_hi:[1,0]
	v_pk_add_f32 v[126:127], v[126:127], v[130:131] op_sel:[0,1] op_sel_hi:[1,0] neg_lo:[0,1] neg_hi:[0,1]
	ds_read2_b64 v[130:133], v97 offset0:50 offset1:75
	v_mov_b32_e32 v161, v127
	v_mov_b32_e32 v127, v159
	ds_write_b64 v97, v[126:127] offset:2000
	v_pk_add_f32 v[126:127], v[128:129], v[136:137]
	v_mov_b32_e32 v160, v158
	v_pk_add_f32 v[126:127], v[126:127], v[134:135]
	ds_write_b64 v97, v[160:161] offset:1000
	ds_read_b64 v[158:159], v97 offset:2800
	ds_write2_b64 v97, v[118:119], v[126:127] offset1:25
	v_pk_add_f32 v[118:119], v[136:137], v[134:135]
	v_pk_add_f32 v[126:127], v[136:137], v[134:135] neg_lo:[0,1] neg_hi:[0,1]
	v_pk_fma_f32 v[118:119], v[118:119], 0.5, v[128:129] op_sel_hi:[1,0,1] neg_lo:[1,0,0] neg_hi:[1,0,0]
	v_pk_mul_f32 v[126:127], v[126:127], s[10:11] op_sel_hi:[1,0]
	s_nop 0
	v_pk_add_f32 v[128:129], v[118:119], v[126:127] op_sel:[0,1] op_sel_hi:[1,0]
	v_pk_add_f32 v[118:119], v[118:119], v[126:127] op_sel:[0,1] op_sel_hi:[1,0] neg_lo:[0,1] neg_hi:[0,1]
	v_mov_b32_e32 v126, v128
	v_mov_b32_e32 v127, v119
	v_mov_b32_e32 v119, v129
	ds_write_b64 v97, v[118:119] offset:2200
	v_pk_add_f32 v[118:119], v[138:139], v[142:143]
	v_pk_add_f32 v[128:129], v[138:139], v[142:143] neg_lo:[0,1] neg_hi:[0,1]
	s_waitcnt lgkmcnt(5)
	v_pk_fma_f32 v[118:119], v[118:119], 0.5, v[130:131] op_sel_hi:[1,0,1] neg_lo:[1,0,0] neg_hi:[1,0,0]
	v_pk_mul_f32 v[128:129], v[128:129], s[10:11] op_sel_hi:[1,0]
	s_nop 0
	v_pk_add_f32 v[134:135], v[118:119], v[128:129] op_sel:[0,1] op_sel_hi:[1,0]
	v_pk_add_f32 v[118:119], v[118:119], v[128:129] op_sel:[0,1] op_sel_hi:[1,0] neg_lo:[0,1] neg_hi:[0,1]
	v_mov_b32_e32 v128, v134
	v_mov_b32_e32 v129, v119
	ds_write2_b64 v97, v[126:127], v[128:129] offset0:150 offset1:175
	v_pk_add_f32 v[126:127], v[130:131], v[138:139]
	v_pk_add_f32 v[128:129], v[132:133], v[150:151]
	;; [unrolled: 1-line block ×4, first 2 shown]
	ds_write2_b64 v97, v[126:127], v[128:129] offset0:50 offset1:75
	v_pk_add_f32 v[126:127], v[150:151], v[146:147]
	v_pk_add_f32 v[128:129], v[150:151], v[146:147] neg_lo:[0,1] neg_hi:[0,1]
	v_pk_fma_f32 v[126:127], v[126:127], 0.5, v[132:133] op_sel_hi:[1,0,1] neg_lo:[1,0,0] neg_hi:[1,0,0]
	v_pk_mul_f32 v[128:129], v[128:129], s[10:11] op_sel_hi:[1,0]
	v_mov_b32_e32 v119, v135
	v_pk_add_f32 v[130:131], v[126:127], v[128:129] op_sel:[0,1] op_sel_hi:[1,0]
	v_pk_add_f32 v[126:127], v[126:127], v[128:129] op_sel:[0,1] op_sel_hi:[1,0] neg_lo:[0,1] neg_hi:[0,1]
	v_mov_b32_e32 v128, v130
	v_mov_b32_e32 v129, v127
	v_mov_b32_e32 v127, v131
	ds_write2_b64 v101, v[118:119], v[126:127] offset0:44 offset1:69
	v_mov_b32_e32 v118, v59
	s_waitcnt lgkmcnt(5)
	v_pk_mul_f32 v[126:127], v[158:159], v[118:119] op_sel_hi:[1,0]
	s_nop 0
	v_pk_fma_f32 v[132:133], v[158:159], v[58:59], v[126:127] op_sel:[0,0,1] op_sel_hi:[1,1,0] neg_lo:[0,0,1] neg_hi:[0,0,1]
	v_pk_fma_f32 v[126:127], v[158:159], v[58:59], v[126:127] op_sel:[0,0,1] op_sel_hi:[1,0,0]
	s_nop 0
	v_mov_b32_e32 v133, v127
	v_pk_add_f32 v[126:127], v[154:155], v[132:133]
	v_pk_add_f32 v[130:131], v[154:155], v[132:133] neg_lo:[0,1] neg_hi:[0,1]
	v_pk_fma_f32 v[126:127], v[126:127], 0.5, v[124:125] op_sel_hi:[1,0,1] neg_lo:[1,0,0] neg_hi:[1,0,0]
	v_pk_mul_f32 v[130:131], v[130:131], s[10:11] op_sel_hi:[1,0]
	v_pk_add_f32 v[124:125], v[124:125], v[154:155]
	v_pk_add_f32 v[134:135], v[126:127], v[130:131] op_sel:[0,1] op_sel_hi:[1,0]
	v_pk_add_f32 v[126:127], v[126:127], v[130:131] op_sel:[0,1] op_sel_hi:[1,0] neg_lo:[0,1] neg_hi:[0,1]
	v_mov_b32_e32 v130, v134
	v_mov_b32_e32 v131, v127
	v_pk_add_f32 v[124:125], v[124:125], v[132:133]
	v_mov_b32_e32 v127, v135
	ds_write2_b64 v97, v[128:129], v[130:131] offset0:200 offset1:225
	ds_write_b64 v97, v[124:125] offset:800
	ds_write_b64 v97, v[126:127] offset:2800
	s_waitcnt lgkmcnt(0)
	s_barrier
	global_load_dwordx2 v[128:129], v103, s[8:9] offset:3000
	global_load_dwordx2 v[132:133], v103, s[16:17] offset:200
	;; [unrolled: 1-line block ×4, first 2 shown]
	ds_read2_b64 v[124:127], v97 offset1:25
	global_load_dwordx2 v[138:139], v103, s[16:17] offset:2800
	global_load_dwordx2 v[142:143], v103, s[16:17] offset:800
	;; [unrolled: 1-line block ×3, first 2 shown]
	s_waitcnt vmcnt(6) lgkmcnt(0)
	v_mul_f32_e32 v43, v125, v129
	v_mul_f32_e32 v141, v124, v129
	v_fma_f32 v140, v124, v128, -v43
	v_fmac_f32_e32 v141, v125, v128
	ds_read2_b64 v[128:131], v97 offset0:150 offset1:175
	s_waitcnt vmcnt(5)
	v_mul_f32_e32 v43, v127, v133
	v_fma_f32 v146, v126, v132, -v43
	v_mul_f32_e32 v147, v126, v133
	v_fmac_f32_e32 v147, v127, v132
	s_waitcnt vmcnt(4) lgkmcnt(0)
	v_mul_f32_e32 v43, v129, v135
	v_mul_f32_e32 v151, v128, v135
	v_fma_f32 v150, v128, v134, -v43
	v_fmac_f32_e32 v151, v129, v134
	s_waitcnt vmcnt(3)
	v_mul_f32_e32 v43, v131, v137
	v_mul_f32_e32 v129, v130, v137
	global_load_dwordx2 v[132:133], v103, s[16:17] offset:1600
	global_load_dwordx2 v[148:149], v103, s[16:17] offset:1000
	v_fma_f32 v128, v130, v136, -v43
	v_fmac_f32_e32 v129, v131, v136
	global_load_dwordx2 v[130:131], v103, s[16:17] offset:2400
	global_load_dwordx2 v[134:135], v103, s[16:17] offset:2200
	;; [unrolled: 1-line block ×3, first 2 shown]
	ds_read2_b64 v[124:127], v101 offset0:44 offset1:69
	s_waitcnt vmcnt(2) lgkmcnt(0)
	v_mul_f32_e32 v43, v125, v131
	v_mul_f32_e32 v137, v124, v131
	v_fma_f32 v136, v124, v130, -v43
	v_fmac_f32_e32 v137, v125, v130
	global_load_dwordx2 v[124:125], v103, s[16:17] offset:2600
	s_waitcnt vmcnt(0)
	v_mul_f32_e32 v43, v127, v125
	v_mul_f32_e32 v131, v126, v125
	v_fma_f32 v130, v126, v124, -v43
	v_fmac_f32_e32 v131, v127, v124
	ds_read2_b64 v[124:127], v97 offset0:50 offset1:75
	s_waitcnt lgkmcnt(0)
	v_mul_f32_e32 v43, v127, v153
	v_fma_f32 v154, v126, v152, -v43
	v_mul_f32_e32 v155, v126, v153
	v_mul_f32_e32 v43, v125, v145
	;; [unrolled: 1-line block ×3, first 2 shown]
	v_fmac_f32_e32 v155, v127, v152
	v_fma_f32 v152, v124, v144, -v43
	v_fmac_f32_e32 v153, v125, v144
	ds_read2_b64 v[124:127], v97 offset0:100 offset1:125
	s_waitcnt lgkmcnt(0)
	v_mul_f32_e32 v43, v125, v143
	v_fma_f32 v144, v124, v142, -v43
	v_mul_f32_e32 v145, v124, v143
	v_mul_f32_e32 v43, v127, v149
	v_mul_f32_e32 v143, v126, v149
	v_fmac_f32_e32 v145, v125, v142
	v_fma_f32 v142, v126, v148, -v43
	v_fmac_f32_e32 v143, v127, v148
	global_load_dwordx2 v[148:149], v103, s[16:17] offset:1800
	global_load_dwordx2 v[156:157], v103, s[16:17] offset:2000
	ds_read2_b64 v[124:127], v97 offset0:200 offset1:225
	s_waitcnt vmcnt(1) lgkmcnt(0)
	v_mul_f32_e32 v43, v127, v149
	v_fma_f32 v158, v126, v148, -v43
	v_mul_f32_e32 v159, v126, v149
	v_mul_f32_e32 v43, v125, v133
	;; [unrolled: 1-line block ×3, first 2 shown]
	v_fmac_f32_e32 v159, v127, v148
	v_fma_f32 v148, v124, v132, -v43
	v_fmac_f32_e32 v149, v125, v132
	ds_read2_b64 v[124:127], v99 offset0:122 offset1:147
	ds_write2_b64 v97, v[140:141], v[146:147] offset1:25
	ds_write2_b64 v97, v[150:151], v[128:129] offset0:150 offset1:175
	ds_write2_b64 v101, v[136:137], v[130:131] offset0:44 offset1:69
	s_waitcnt vmcnt(0) lgkmcnt(3)
	v_mul_f32_e32 v43, v125, v157
	v_mul_f32_e32 v133, v124, v157
	v_fma_f32 v132, v124, v156, -v43
	v_fmac_f32_e32 v133, v125, v156
	v_mul_f32_e32 v43, v127, v135
	v_mul_f32_e32 v125, v126, v135
	v_fma_f32 v124, v126, v134, -v43
	v_fmac_f32_e32 v125, v127, v134
	ds_read_b64 v[126:127], v97 offset:2800
	ds_write2_b64 v97, v[152:153], v[154:155] offset0:50 offset1:75
	ds_write2_b64 v97, v[144:145], v[142:143] offset0:100 offset1:125
	;; [unrolled: 1-line block ×4, first 2 shown]
	s_waitcnt lgkmcnt(4)
	v_mul_f32_e32 v43, v127, v139
	v_mul_f32_e32 v125, v126, v139
	v_fma_f32 v124, v126, v138, -v43
	v_fmac_f32_e32 v125, v127, v138
	ds_write_b64 v97, v[124:125] offset:2800
	s_waitcnt lgkmcnt(0)
	s_barrier
	ds_read2_b64 v[124:127], v97 offset0:150 offset1:175
	ds_read2_b64 v[128:131], v97 offset0:50 offset1:75
	;; [unrolled: 1-line block ×4, first 2 shown]
	ds_read2_b64 v[140:143], v97 offset1:25
	s_waitcnt lgkmcnt(3)
	v_pk_add_f32 v[144:145], v[130:131], v[124:125] neg_lo:[0,1] neg_hi:[0,1]
	s_waitcnt lgkmcnt(2)
	v_pk_add_f32 v[154:155], v[130:131], v[132:133] neg_lo:[0,1] neg_hi:[0,1]
	;; [unrolled: 2-line block ×3, first 2 shown]
	v_pk_add_f32 v[156:157], v[124:125], v[138:139] neg_lo:[0,1] neg_hi:[0,1]
	v_pk_add_f32 v[152:153], v[144:145], v[146:147]
	v_pk_add_f32 v[144:145], v[124:125], v[138:139]
	v_pk_mul_f32 v[146:147], v[154:155], s[2:3] op_sel_hi:[1,0]
	s_waitcnt lgkmcnt(0)
	v_pk_fma_f32 v[144:145], v[144:145], 0.5, v[140:141] op_sel_hi:[1,0,1] neg_lo:[1,0,0] neg_hi:[1,0,0]
	s_nop 0
	v_pk_add_f32 v[148:149], v[144:145], v[146:147] op_sel:[0,1] op_sel_hi:[1,0] neg_lo:[0,1] neg_hi:[0,1]
	v_pk_add_f32 v[144:145], v[144:145], v[146:147] op_sel:[0,1] op_sel_hi:[1,0]
	v_pk_mul_f32 v[146:147], v[156:157], s[14:15] op_sel_hi:[1,0]
	s_nop 0
	v_pk_add_f32 v[158:159], v[144:145], v[146:147] op_sel:[0,1] op_sel_hi:[1,0]
	v_pk_add_f32 v[144:145], v[140:141], v[130:131]
	v_pk_add_f32 v[160:161], v[148:149], v[146:147] op_sel:[0,1] op_sel_hi:[1,0] neg_lo:[0,1] neg_hi:[0,1]
	v_pk_add_f32 v[144:145], v[144:145], v[124:125]
	v_pk_add_f32 v[124:125], v[124:125], v[130:131] neg_lo:[0,1] neg_hi:[0,1]
	v_pk_add_f32 v[144:145], v[144:145], v[138:139]
	v_pk_add_f32 v[130:131], v[130:131], v[132:133]
	;; [unrolled: 1-line block ×3, first 2 shown]
	ds_read_b64 v[164:165], v97 offset:2800
	ds_read2_b64 v[144:147], v97 offset0:100 offset1:125
	ds_read2_b64 v[148:151], v99 offset0:122 offset1:147
	v_pk_add_f32 v[138:139], v[138:139], v[132:133] neg_lo:[0,1] neg_hi:[0,1]
	v_pk_fma_f32 v[130:131], v[130:131], 0.5, v[140:141] op_sel_hi:[1,0,1] neg_lo:[1,0,0] neg_hi:[1,0,0]
	v_pk_mul_f32 v[132:133], v[156:157], s[2:3] op_sel_hi:[1,0]
	v_pk_add_f32 v[124:125], v[124:125], v[138:139]
	v_pk_add_f32 v[138:139], v[130:131], v[132:133] op_sel:[0,1] op_sel_hi:[1,0]
	v_pk_add_f32 v[130:131], v[130:131], v[132:133] op_sel:[0,1] op_sel_hi:[1,0] neg_lo:[0,1] neg_hi:[0,1]
	v_pk_mul_f32 v[132:133], v[154:155], s[14:15] op_sel_hi:[1,0]
	v_mov_b32_e32 v167, v159
	v_pk_add_f32 v[130:131], v[130:131], v[132:133] op_sel:[0,1] op_sel_hi:[1,0]
	v_pk_add_f32 v[132:133], v[138:139], v[132:133] op_sel:[0,1] op_sel_hi:[1,0] neg_lo:[0,1] neg_hi:[0,1]
	v_mov_b32_e32 v139, v131
	v_mov_b32_e32 v138, v132
	;; [unrolled: 1-line block ×3, first 2 shown]
	v_pk_fma_f32 v[132:133], v[124:125], s[12:13], v[138:139] op_sel_hi:[1,0,1]
	v_pk_fma_f32 v[124:125], v[124:125], s[12:13], v[130:131] op_sel_hi:[1,0,1]
	v_mov_b32_e32 v159, v161
	s_waitcnt lgkmcnt(0)
	s_barrier
	ds_write2_b64 v105, v[132:133], v[124:125] offset0:2 offset1:3
	v_pk_fma_f32 v[124:125], v[152:153], s[12:13], v[158:159] op_sel_hi:[1,0,1]
	v_pk_add_f32 v[138:139], v[144:145], v[126:127] neg_lo:[0,1] neg_hi:[0,1]
	v_pk_add_f32 v[140:141], v[134:135], v[148:149] neg_lo:[0,1] neg_hi:[0,1]
	ds_write_b64 v105, v[124:125] offset:32
	v_pk_add_f32 v[124:125], v[126:127], v[148:149]
	v_pk_add_f32 v[130:131], v[144:145], v[134:135]
	;; [unrolled: 1-line block ×3, first 2 shown]
	v_pk_add_f32 v[140:141], v[144:145], v[134:135] neg_lo:[0,1] neg_hi:[0,1]
	v_mov_b32_e32 v166, v160
	v_pk_fma_f32 v[124:125], v[124:125], 0.5, v[142:143] op_sel_hi:[1,0,1] neg_lo:[1,0,0] neg_hi:[1,0,0]
	v_pk_fma_f32 v[130:131], v[130:131], 0.5, v[142:143] op_sel_hi:[1,0,1] neg_lo:[1,0,0] neg_hi:[1,0,0]
	v_pk_add_f32 v[132:133], v[142:143], v[144:145]
	v_pk_mul_f32 v[142:143], v[140:141], s[2:3] op_sel_hi:[1,0]
	v_pk_fma_f32 v[166:167], v[152:153], s[12:13], v[166:167] op_sel_hi:[1,0,1]
	v_pk_add_f32 v[152:153], v[124:125], v[142:143] op_sel:[0,1] op_sel_hi:[1,0] neg_lo:[0,1] neg_hi:[0,1]
	v_pk_add_f32 v[124:125], v[124:125], v[142:143] op_sel:[0,1] op_sel_hi:[1,0]
	v_pk_add_f32 v[142:143], v[126:127], v[148:149] neg_lo:[0,1] neg_hi:[0,1]
	v_pk_add_f32 v[132:133], v[132:133], v[126:127]
	v_pk_mul_f32 v[154:155], v[142:143], s[14:15] op_sel_hi:[1,0]
	v_pk_add_f32 v[132:133], v[132:133], v[148:149]
	v_pk_add_f32 v[124:125], v[124:125], v[154:155] op_sel:[0,1] op_sel_hi:[1,0]
	v_pk_add_f32 v[152:153], v[152:153], v[154:155] op_sel:[0,1] op_sel_hi:[1,0] neg_lo:[0,1] neg_hi:[0,1]
	v_mov_b32_e32 v155, v125
	v_mov_b32_e32 v154, v152
	v_pk_add_f32 v[132:133], v[132:133], v[134:135]
	v_pk_fma_f32 v[154:155], v[138:139], s[12:13], v[154:155] op_sel_hi:[1,0,1]
	ds_write2_b64 v105, v[162:163], v[166:167] offset1:1
	ds_write2_b64 v107, v[132:133], v[154:155] offset1:1
	v_pk_add_f32 v[126:127], v[126:127], v[144:145] neg_lo:[0,1] neg_hi:[0,1]
	v_pk_add_f32 v[132:133], v[148:149], v[134:135] neg_lo:[0,1] neg_hi:[0,1]
	v_mov_b32_e32 v125, v153
	v_pk_add_f32 v[126:127], v[126:127], v[132:133]
	v_pk_mul_f32 v[132:133], v[142:143], s[2:3] op_sel_hi:[1,0]
	v_pk_fma_f32 v[124:125], v[138:139], s[12:13], v[124:125] op_sel_hi:[1,0,1]
	v_pk_add_f32 v[134:135], v[130:131], v[132:133] op_sel:[0,1] op_sel_hi:[1,0]
	v_pk_add_f32 v[130:131], v[130:131], v[132:133] op_sel:[0,1] op_sel_hi:[1,0] neg_lo:[0,1] neg_hi:[0,1]
	v_pk_mul_f32 v[132:133], v[140:141], s[14:15] op_sel_hi:[1,0]
	ds_write_b64 v107, v[124:125] offset:32
	v_pk_add_f32 v[130:131], v[130:131], v[132:133] op_sel:[0,1] op_sel_hi:[1,0]
	v_pk_add_f32 v[132:133], v[134:135], v[132:133] op_sel:[0,1] op_sel_hi:[1,0] neg_lo:[0,1] neg_hi:[0,1]
	v_mov_b32_e32 v135, v131
	v_mov_b32_e32 v134, v132
	v_mov_b32_e32 v131, v133
	v_pk_fma_f32 v[132:133], v[126:127], s[12:13], v[134:135] op_sel_hi:[1,0,1]
	v_pk_fma_f32 v[126:127], v[126:127], s[12:13], v[130:131] op_sel_hi:[1,0,1]
	ds_write2_b64 v107, v[132:133], v[126:127] offset0:2 offset1:3
	v_pk_add_f32 v[124:125], v[146:147], v[136:137] neg_lo:[0,1] neg_hi:[0,1]
	v_pk_add_f32 v[126:127], v[164:165], v[150:151] neg_lo:[0,1] neg_hi:[0,1]
	;; [unrolled: 1-line block ×3, first 2 shown]
	v_pk_add_f32 v[124:125], v[124:125], v[126:127]
	v_pk_add_f32 v[126:127], v[136:137], v[150:151]
	v_pk_mul_f32 v[132:133], v[130:131], s[2:3] op_sel_hi:[1,0]
	v_pk_fma_f32 v[126:127], v[126:127], 0.5, v[128:129] op_sel_hi:[1,0,1] neg_lo:[1,0,0] neg_hi:[1,0,0]
	v_pk_mul_f32 v[130:131], v[130:131], s[14:15] op_sel_hi:[1,0]
	v_pk_add_f32 v[134:135], v[126:127], v[132:133] op_sel:[0,1] op_sel_hi:[1,0] neg_lo:[0,1] neg_hi:[0,1]
	v_pk_add_f32 v[126:127], v[126:127], v[132:133] op_sel:[0,1] op_sel_hi:[1,0]
	v_pk_add_f32 v[132:133], v[136:137], v[150:151] neg_lo:[0,1] neg_hi:[0,1]
	s_nop 0
	v_pk_mul_f32 v[138:139], v[132:133], s[14:15] op_sel_hi:[1,0]
	v_pk_mul_f32 v[132:133], v[132:133], s[2:3] op_sel_hi:[1,0]
	v_pk_add_f32 v[126:127], v[126:127], v[138:139] op_sel:[0,1] op_sel_hi:[1,0]
	v_pk_add_f32 v[134:135], v[134:135], v[138:139] op_sel:[0,1] op_sel_hi:[1,0] neg_lo:[0,1] neg_hi:[0,1]
	v_pk_add_f32 v[138:139], v[128:129], v[146:147]
	v_mov_b32_e32 v140, v134
	v_pk_add_f32 v[138:139], v[138:139], v[136:137]
	v_mov_b32_e32 v141, v127
	v_pk_add_f32 v[138:139], v[138:139], v[150:151]
	v_pk_fma_f32 v[140:141], v[124:125], s[12:13], v[140:141] op_sel_hi:[1,0,1]
	v_pk_add_f32 v[138:139], v[138:139], v[164:165]
	ds_write2_b64 v87, v[138:139], v[140:141] offset1:1
	v_pk_add_f32 v[138:139], v[146:147], v[164:165]
	v_pk_add_f32 v[136:137], v[136:137], v[146:147] neg_lo:[0,1] neg_hi:[0,1]
	v_pk_fma_f32 v[128:129], v[138:139], 0.5, v[128:129] op_sel_hi:[1,0,1] neg_lo:[1,0,0] neg_hi:[1,0,0]
	v_pk_add_f32 v[138:139], v[150:151], v[164:165] neg_lo:[0,1] neg_hi:[0,1]
	v_mov_b32_e32 v127, v135
	v_pk_add_f32 v[136:137], v[136:137], v[138:139]
	v_pk_add_f32 v[138:139], v[128:129], v[132:133] op_sel:[0,1] op_sel_hi:[1,0]
	v_pk_add_f32 v[128:129], v[128:129], v[132:133] op_sel:[0,1] op_sel_hi:[1,0] neg_lo:[0,1] neg_hi:[0,1]
	v_pk_fma_f32 v[124:125], v[124:125], s[12:13], v[126:127] op_sel_hi:[1,0,1]
	v_pk_add_f32 v[128:129], v[128:129], v[130:131] op_sel:[0,1] op_sel_hi:[1,0]
	v_pk_add_f32 v[130:131], v[138:139], v[130:131] op_sel:[0,1] op_sel_hi:[1,0] neg_lo:[0,1] neg_hi:[0,1]
	v_mov_b32_e32 v133, v129
	v_mov_b32_e32 v132, v130
	;; [unrolled: 1-line block ×3, first 2 shown]
	v_pk_fma_f32 v[130:131], v[136:137], s[12:13], v[132:133] op_sel_hi:[1,0,1]
	v_pk_fma_f32 v[128:129], v[136:137], s[12:13], v[128:129] op_sel_hi:[1,0,1]
	ds_write2_b64 v87, v[130:131], v[128:129] offset0:2 offset1:3
	ds_write_b64 v87, v[124:125] offset:32
	s_waitcnt lgkmcnt(0)
	s_barrier
	ds_read_b64 v[128:129], v97 offset:2800
	ds_read2_b64 v[124:127], v99 offset0:122 offset1:147
	s_waitcnt lgkmcnt(1)
	v_pk_mul_f32 v[130:131], v[120:121], v[128:129] op_sel_hi:[0,1]
	v_pk_fma_f32 v[120:121], v[14:15], v[128:129], v[130:131] op_sel:[0,0,1] op_sel_hi:[1,1,0]
	v_pk_fma_f32 v[132:133], v[14:15], v[128:129], v[130:131] op_sel:[0,0,1] op_sel_hi:[0,1,0] neg_lo:[0,0,1] neg_hi:[0,0,1]
	ds_read2_b64 v[128:131], v101 offset0:44 offset1:69
	s_waitcnt lgkmcnt(1)
	v_pk_mul_f32 v[134:135], v[12:13], v[126:127] op_sel:[1,0]
	v_mov_b32_e32 v121, v133
	v_pk_fma_f32 v[14:15], v[12:13], v[126:127], v[134:135] op_sel:[0,0,1] op_sel_hi:[1,1,0]
	v_pk_fma_f32 v[12:13], v[12:13], v[126:127], v[134:135] op_sel:[0,0,1] op_sel_hi:[0,1,0] neg_lo:[0,0,1] neg_hi:[0,0,1]
	v_pk_mul_f32 v[126:127], v[8:9], v[124:125] op_sel:[1,0]
	v_mov_b32_e32 v15, v13
	v_pk_fma_f32 v[134:135], v[8:9], v[124:125], v[126:127] op_sel:[0,0,1] op_sel_hi:[1,1,0]
	v_pk_fma_f32 v[136:137], v[8:9], v[124:125], v[126:127] op_sel:[0,0,1] op_sel_hi:[0,1,0] neg_lo:[0,0,1] neg_hi:[0,0,1]
	s_waitcnt lgkmcnt(0)
	v_pk_mul_f32 v[8:9], v[104:105], v[130:131] op_sel_hi:[0,1]
	ds_read2_b64 v[124:127], v97 offset0:200 offset1:225
	v_pk_fma_f32 v[104:105], v[10:11], v[130:131], v[8:9] op_sel:[0,0,1] op_sel_hi:[1,1,0]
	v_pk_fma_f32 v[130:131], v[10:11], v[130:131], v[8:9] op_sel:[0,0,1] op_sel_hi:[0,1,0] neg_lo:[0,0,1] neg_hi:[0,0,1]
	v_pk_mul_f32 v[8:9], v[100:101], v[128:129] op_sel_hi:[0,1]
	v_pk_fma_f32 v[138:139], v[30:31], v[128:129], v[8:9] op_sel:[0,0,1] op_sel_hi:[1,1,0]
	v_pk_fma_f32 v[128:129], v[30:31], v[128:129], v[8:9] op_sel:[0,0,1] op_sel_hi:[0,1,0] neg_lo:[0,0,1] neg_hi:[0,0,1]
	ds_read2_b64 v[8:11], v97 offset0:100 offset1:125
	s_waitcnt lgkmcnt(1)
	v_pk_mul_f32 v[30:31], v[28:29], v[126:127] op_sel:[1,0]
	v_mov_b32_e32 v139, v129
	v_pk_fma_f32 v[140:141], v[28:29], v[126:127], v[30:31] op_sel:[0,0,1] op_sel_hi:[1,1,0]
	v_pk_fma_f32 v[126:127], v[28:29], v[126:127], v[30:31] op_sel:[0,0,1] op_sel_hi:[0,1,0] neg_lo:[0,0,1] neg_hi:[0,0,1]
	v_pk_mul_f32 v[28:29], v[98:99], v[124:125] op_sel_hi:[0,1]
	v_pk_fma_f32 v[142:143], v[6:7], v[124:125], v[28:29] op_sel:[0,0,1] op_sel_hi:[1,1,0]
	v_pk_fma_f32 v[124:125], v[6:7], v[124:125], v[28:29] op_sel:[0,0,1] op_sel_hi:[0,1,0] neg_lo:[0,0,1] neg_hi:[0,0,1]
	s_waitcnt lgkmcnt(0)
	v_pk_mul_f32 v[6:7], v[4:5], v[10:11] op_sel:[1,0]
	ds_read2_b64 v[28:31], v97 offset0:150 offset1:175
	v_pk_fma_f32 v[144:145], v[4:5], v[10:11], v[6:7] op_sel:[0,0,1] op_sel_hi:[1,1,0]
	v_pk_fma_f32 v[10:11], v[4:5], v[10:11], v[6:7] op_sel:[0,0,1] op_sel_hi:[0,1,0] neg_lo:[0,0,1] neg_hi:[0,0,1]
	v_pk_mul_f32 v[4:5], v[0:1], v[8:9] op_sel:[1,0]
	v_mov_b32_e32 v141, v127
	v_pk_fma_f32 v[146:147], v[0:1], v[8:9], v[4:5] op_sel:[0,0,1] op_sel_hi:[1,1,0]
	v_pk_fma_f32 v[8:9], v[0:1], v[8:9], v[4:5] op_sel:[0,0,1] op_sel_hi:[0,1,0] neg_lo:[0,0,1] neg_hi:[0,0,1]
	ds_read2_b64 v[4:7], v97 offset0:50 offset1:75
	s_waitcnt lgkmcnt(1)
	v_pk_mul_f32 v[0:1], v[96:97], v[30:31] op_sel_hi:[0,1]
	v_pk_fma_f32 v[148:149], v[2:3], v[30:31], v[0:1] op_sel:[0,0,1] op_sel_hi:[1,1,0]
	v_pk_fma_f32 v[30:31], v[2:3], v[30:31], v[0:1] op_sel:[0,0,1] op_sel_hi:[0,1,0] neg_lo:[0,0,1] neg_hi:[0,0,1]
	v_pk_mul_f32 v[0:1], v[94:95], v[28:29] op_sel_hi:[0,1]
	s_waitcnt lgkmcnt(0)
	v_pk_mul_f32 v[2:3], v[20:21], v[6:7] op_sel:[1,0]
	v_pk_fma_f32 v[150:151], v[22:23], v[28:29], v[0:1] op_sel:[0,0,1] op_sel_hi:[1,1,0]
	v_pk_fma_f32 v[0:1], v[22:23], v[28:29], v[0:1] op_sel:[0,0,1] op_sel_hi:[0,1,0] neg_lo:[0,0,1] neg_hi:[0,0,1]
	v_pk_fma_f32 v[22:23], v[20:21], v[6:7], v[2:3] op_sel:[0,0,1] op_sel_hi:[1,1,0]
	v_pk_fma_f32 v[2:3], v[20:21], v[6:7], v[2:3] op_sel:[0,0,1] op_sel_hi:[0,1,0] neg_lo:[0,0,1] neg_hi:[0,0,1]
	v_mov_b32_e32 v23, v3
	v_mov_b32_e32 v151, v1
	ds_read2_b64 v[0:3], v97 offset1:25
	v_pk_add_f32 v[6:7], v[22:23], v[150:151] neg_lo:[0,1] neg_hi:[0,1]
	v_pk_add_f32 v[20:21], v[138:139], v[140:141] neg_lo:[0,1] neg_hi:[0,1]
	;; [unrolled: 1-line block ×3, first 2 shown]
	v_pk_add_f32 v[6:7], v[6:7], v[20:21]
	v_pk_add_f32 v[20:21], v[150:151], v[140:141]
	v_pk_mul_f32 v[126:127], v[28:29], s[2:3] op_sel_hi:[1,0]
	s_waitcnt lgkmcnt(0)
	v_pk_fma_f32 v[20:21], v[20:21], 0.5, v[0:1] op_sel_hi:[1,0,1] neg_lo:[1,0,0] neg_hi:[1,0,0]
	s_nop 0
	v_pk_add_f32 v[128:129], v[20:21], v[126:127] op_sel:[0,1] op_sel_hi:[1,0] neg_lo:[0,1] neg_hi:[0,1]
	v_pk_add_f32 v[20:21], v[20:21], v[126:127] op_sel:[0,1] op_sel_hi:[1,0]
	v_pk_add_f32 v[126:127], v[150:151], v[140:141] neg_lo:[0,1] neg_hi:[0,1]
	s_barrier
	v_pk_mul_f32 v[152:153], v[126:127], s[14:15] op_sel_hi:[1,0]
	s_nop 0
	v_pk_add_f32 v[20:21], v[20:21], v[152:153] op_sel:[0,1] op_sel_hi:[1,0]
	v_pk_add_f32 v[128:129], v[128:129], v[152:153] op_sel:[0,1] op_sel_hi:[1,0] neg_lo:[0,1] neg_hi:[0,1]
	v_pk_add_f32 v[152:153], v[0:1], v[22:23]
	v_mov_b32_e32 v155, v21
	v_pk_add_f32 v[152:153], v[152:153], v[150:151]
	v_pk_add_f32 v[150:151], v[150:151], v[22:23] neg_lo:[0,1] neg_hi:[0,1]
	v_pk_add_f32 v[22:23], v[22:23], v[138:139]
	v_pk_add_f32 v[152:153], v[152:153], v[140:141]
	v_pk_fma_f32 v[0:1], v[22:23], 0.5, v[0:1] op_sel_hi:[1,0,1] neg_lo:[1,0,0] neg_hi:[1,0,0]
	v_pk_mul_f32 v[22:23], v[126:127], s[2:3] op_sel_hi:[1,0]
	v_pk_add_f32 v[152:153], v[152:153], v[138:139]
	v_pk_add_f32 v[126:127], v[0:1], v[22:23] op_sel:[0,1] op_sel_hi:[1,0]
	v_pk_add_f32 v[0:1], v[0:1], v[22:23] op_sel:[0,1] op_sel_hi:[1,0] neg_lo:[0,1] neg_hi:[0,1]
	v_pk_mul_f32 v[22:23], v[28:29], s[14:15] op_sel_hi:[1,0]
	v_pk_add_f32 v[138:139], v[140:141], v[138:139] neg_lo:[0,1] neg_hi:[0,1]
	v_pk_add_f32 v[0:1], v[0:1], v[22:23] op_sel:[0,1] op_sel_hi:[1,0]
	v_pk_add_f32 v[22:23], v[126:127], v[22:23] op_sel:[0,1] op_sel_hi:[1,0] neg_lo:[0,1] neg_hi:[0,1]
	v_pk_add_f32 v[138:139], v[150:151], v[138:139]
	v_mov_b32_e32 v28, v22
	v_mov_b32_e32 v29, v1
	;; [unrolled: 1-line block ×3, first 2 shown]
	v_pk_fma_f32 v[22:23], v[138:139], s[12:13], v[28:29] op_sel_hi:[1,0,1]
	v_pk_fma_f32 v[0:1], v[138:139], s[12:13], v[0:1] op_sel_hi:[1,0,1]
	v_mov_b32_e32 v21, v129
	v_mov_b32_e32 v154, v128
	ds_write2_b64 v109, v[22:23], v[0:1] offset0:10 offset1:15
	v_pk_fma_f32 v[0:1], v[6:7], s[12:13], v[20:21] op_sel_hi:[1,0,1]
	v_mov_b32_e32 v147, v9
	v_mov_b32_e32 v149, v31
	;; [unrolled: 1-line block ×4, first 2 shown]
	v_pk_fma_f32 v[154:155], v[6:7], s[12:13], v[154:155] op_sel_hi:[1,0,1]
	ds_write_b64 v109, v[0:1] offset:160
	v_pk_add_f32 v[0:1], v[146:147], v[148:149] neg_lo:[0,1] neg_hi:[0,1]
	v_pk_add_f32 v[6:7], v[104:105], v[134:135] neg_lo:[0,1] neg_hi:[0,1]
	;; [unrolled: 1-line block ×3, first 2 shown]
	v_pk_add_f32 v[0:1], v[0:1], v[6:7]
	v_pk_add_f32 v[6:7], v[148:149], v[134:135]
	v_pk_mul_f32 v[20:21], v[8:9], s[2:3] op_sel_hi:[1,0]
	v_pk_fma_f32 v[6:7], v[6:7], 0.5, v[2:3] op_sel_hi:[1,0,1] neg_lo:[1,0,0] neg_hi:[1,0,0]
	ds_write2_b64 v109, v[152:153], v[154:155] offset1:5
	v_pk_add_f32 v[22:23], v[6:7], v[20:21] op_sel:[0,1] op_sel_hi:[1,0] neg_lo:[0,1] neg_hi:[0,1]
	v_pk_add_f32 v[6:7], v[6:7], v[20:21] op_sel:[0,1] op_sel_hi:[1,0]
	v_pk_add_f32 v[20:21], v[148:149], v[134:135] neg_lo:[0,1] neg_hi:[0,1]
	v_pk_mul_f32 v[8:9], v[8:9], s[14:15] op_sel_hi:[1,0]
	v_pk_mul_f32 v[28:29], v[20:21], s[14:15] op_sel_hi:[1,0]
	;; [unrolled: 1-line block ×3, first 2 shown]
	v_pk_add_f32 v[6:7], v[6:7], v[28:29] op_sel:[0,1] op_sel_hi:[1,0]
	v_pk_add_f32 v[22:23], v[22:23], v[28:29] op_sel:[0,1] op_sel_hi:[1,0] neg_lo:[0,1] neg_hi:[0,1]
	v_pk_add_f32 v[28:29], v[2:3], v[146:147]
	v_mov_b32_e32 v30, v22
	v_pk_add_f32 v[28:29], v[28:29], v[148:149]
	v_mov_b32_e32 v31, v7
	v_pk_add_f32 v[28:29], v[28:29], v[134:135]
	v_pk_fma_f32 v[30:31], v[0:1], s[12:13], v[30:31] op_sel_hi:[1,0,1]
	v_pk_add_f32 v[28:29], v[28:29], v[104:105]
	ds_write2_b64 v111, v[28:29], v[30:31] offset1:5
	v_pk_add_f32 v[28:29], v[146:147], v[104:105]
	v_pk_add_f32 v[30:31], v[134:135], v[104:105] neg_lo:[0,1] neg_hi:[0,1]
	v_pk_fma_f32 v[2:3], v[28:29], 0.5, v[2:3] op_sel_hi:[1,0,1] neg_lo:[1,0,0] neg_hi:[1,0,0]
	v_pk_add_f32 v[28:29], v[148:149], v[146:147] neg_lo:[0,1] neg_hi:[0,1]
	v_mov_b32_e32 v7, v23
	v_pk_add_f32 v[28:29], v[28:29], v[30:31]
	v_pk_add_f32 v[30:31], v[2:3], v[20:21] op_sel:[0,1] op_sel_hi:[1,0]
	v_pk_add_f32 v[2:3], v[2:3], v[20:21] op_sel:[0,1] op_sel_hi:[1,0] neg_lo:[0,1] neg_hi:[0,1]
	v_pk_fma_f32 v[0:1], v[0:1], s[12:13], v[6:7] op_sel_hi:[1,0,1]
	v_pk_add_f32 v[2:3], v[2:3], v[8:9] op_sel:[0,1] op_sel_hi:[1,0]
	v_pk_add_f32 v[8:9], v[30:31], v[8:9] op_sel:[0,1] op_sel_hi:[1,0] neg_lo:[0,1] neg_hi:[0,1]
	v_mov_b32_e32 v21, v3
	v_mov_b32_e32 v20, v8
	;; [unrolled: 1-line block ×3, first 2 shown]
	v_pk_fma_f32 v[8:9], v[28:29], s[12:13], v[20:21] op_sel_hi:[1,0,1]
	v_pk_fma_f32 v[2:3], v[28:29], s[12:13], v[2:3] op_sel_hi:[1,0,1]
	v_mov_b32_e32 v145, v11
	v_mov_b32_e32 v143, v125
	ds_write2_b64 v111, v[8:9], v[2:3] offset0:10 offset1:15
	ds_write_b64 v111, v[0:1] offset:160
	v_pk_add_f32 v[0:1], v[144:145], v[142:143] neg_lo:[0,1] neg_hi:[0,1]
	v_pk_add_f32 v[2:3], v[120:121], v[14:15] neg_lo:[0,1] neg_hi:[0,1]
	;; [unrolled: 1-line block ×3, first 2 shown]
	v_pk_add_f32 v[0:1], v[0:1], v[2:3]
	v_pk_add_f32 v[2:3], v[142:143], v[14:15]
	v_pk_mul_f32 v[8:9], v[6:7], s[2:3] op_sel_hi:[1,0]
	v_pk_fma_f32 v[2:3], v[2:3], 0.5, v[4:5] op_sel_hi:[1,0,1] neg_lo:[1,0,0] neg_hi:[1,0,0]
	v_pk_mul_f32 v[6:7], v[6:7], s[14:15] op_sel_hi:[1,0]
	v_pk_add_f32 v[10:11], v[2:3], v[8:9] op_sel:[0,1] op_sel_hi:[1,0] neg_lo:[0,1] neg_hi:[0,1]
	v_pk_add_f32 v[2:3], v[2:3], v[8:9] op_sel:[0,1] op_sel_hi:[1,0]
	v_pk_add_f32 v[8:9], v[142:143], v[14:15] neg_lo:[0,1] neg_hi:[0,1]
	s_nop 0
	v_pk_mul_f32 v[12:13], v[8:9], s[14:15] op_sel_hi:[1,0]
	v_pk_mul_f32 v[8:9], v[8:9], s[2:3] op_sel_hi:[1,0]
	v_pk_add_f32 v[2:3], v[2:3], v[12:13] op_sel:[0,1] op_sel_hi:[1,0]
	v_pk_add_f32 v[10:11], v[10:11], v[12:13] op_sel:[0,1] op_sel_hi:[1,0] neg_lo:[0,1] neg_hi:[0,1]
	v_pk_add_f32 v[12:13], v[4:5], v[144:145]
	v_mov_b32_e32 v20, v10
	v_pk_add_f32 v[12:13], v[12:13], v[142:143]
	v_mov_b32_e32 v21, v3
	v_pk_add_f32 v[12:13], v[12:13], v[14:15]
	v_pk_fma_f32 v[20:21], v[0:1], s[12:13], v[20:21] op_sel_hi:[1,0,1]
	v_pk_add_f32 v[12:13], v[12:13], v[120:121]
	ds_write2_b64 v113, v[12:13], v[20:21] offset1:5
	v_pk_add_f32 v[12:13], v[144:145], v[120:121]
	v_pk_add_f32 v[14:15], v[14:15], v[120:121] neg_lo:[0,1] neg_hi:[0,1]
	v_pk_fma_f32 v[4:5], v[12:13], 0.5, v[4:5] op_sel_hi:[1,0,1] neg_lo:[1,0,0] neg_hi:[1,0,0]
	v_pk_add_f32 v[12:13], v[142:143], v[144:145] neg_lo:[0,1] neg_hi:[0,1]
	v_mov_b32_e32 v3, v11
	v_pk_add_f32 v[12:13], v[12:13], v[14:15]
	v_pk_add_f32 v[14:15], v[4:5], v[8:9] op_sel:[0,1] op_sel_hi:[1,0]
	v_pk_add_f32 v[4:5], v[4:5], v[8:9] op_sel:[0,1] op_sel_hi:[1,0] neg_lo:[0,1] neg_hi:[0,1]
	v_pk_fma_f32 v[0:1], v[0:1], s[12:13], v[2:3] op_sel_hi:[1,0,1]
	v_pk_add_f32 v[4:5], v[4:5], v[6:7] op_sel:[0,1] op_sel_hi:[1,0]
	v_pk_add_f32 v[6:7], v[14:15], v[6:7] op_sel:[0,1] op_sel_hi:[1,0] neg_lo:[0,1] neg_hi:[0,1]
	v_mov_b32_e32 v9, v5
	v_mov_b32_e32 v8, v6
	;; [unrolled: 1-line block ×3, first 2 shown]
	v_pk_fma_f32 v[6:7], v[12:13], s[12:13], v[8:9] op_sel_hi:[1,0,1]
	v_pk_fma_f32 v[4:5], v[12:13], s[12:13], v[4:5] op_sel_hi:[1,0,1]
	ds_write2_b64 v113, v[6:7], v[4:5] offset0:10 offset1:15
	ds_write_b64 v113, v[0:1] offset:160
	s_waitcnt lgkmcnt(0)
	s_barrier
	ds_read_b64 v[4:5], v97 offset:2800
	ds_read2_b64 v[0:3], v99 offset0:122 offset1:147
	s_waitcnt lgkmcnt(1)
	v_pk_mul_f32 v[6:7], v[122:123], v[4:5] op_sel_hi:[0,1]
	v_pk_fma_f32 v[8:9], v[38:39], v[4:5], v[6:7] op_sel:[0,0,1] op_sel_hi:[1,1,0]
	v_pk_fma_f32 v[10:11], v[38:39], v[4:5], v[6:7] op_sel:[0,0,1] op_sel_hi:[0,1,0] neg_lo:[0,0,1] neg_hi:[0,0,1]
	ds_read2_b64 v[4:7], v101 offset0:44 offset1:69
	s_waitcnt lgkmcnt(1)
	v_pk_mul_f32 v[12:13], v[36:37], v[2:3] op_sel:[1,0]
	v_mov_b32_e32 v9, v11
	v_pk_fma_f32 v[14:15], v[36:37], v[2:3], v[12:13] op_sel:[0,0,1] op_sel_hi:[1,1,0]
	v_pk_fma_f32 v[12:13], v[36:37], v[2:3], v[12:13] op_sel:[0,0,1] op_sel_hi:[0,1,0] neg_lo:[0,0,1] neg_hi:[0,0,1]
	v_pk_mul_f32 v[2:3], v[16:17], v[0:1] op_sel:[1,0]
	s_waitcnt lgkmcnt(0)
	v_pk_mul_f32 v[28:29], v[108:109], v[4:5] op_sel_hi:[0,1]
	v_pk_fma_f32 v[20:21], v[16:17], v[0:1], v[2:3] op_sel:[0,0,1] op_sel_hi:[1,1,0]
	v_pk_fma_f32 v[22:23], v[16:17], v[0:1], v[2:3] op_sel:[0,0,1] op_sel_hi:[0,1,0] neg_lo:[0,0,1] neg_hi:[0,0,1]
	v_pk_fma_f32 v[30:31], v[18:19], v[4:5], v[28:29] op_sel:[0,0,1] op_sel_hi:[1,1,0]
	ds_read2_b64 v[0:3], v97 offset0:200 offset1:225
	v_pk_fma_f32 v[28:29], v[18:19], v[4:5], v[28:29] op_sel:[0,0,1] op_sel_hi:[0,1,0] neg_lo:[0,0,1] neg_hi:[0,0,1]
	v_pk_mul_f32 v[4:5], v[108:109], v[6:7] op_sel_hi:[0,1]
	v_pk_fma_f32 v[36:37], v[18:19], v[6:7], v[4:5] op_sel:[0,0,1] op_sel_hi:[1,1,0]
	v_pk_fma_f32 v[38:39], v[18:19], v[6:7], v[4:5] op_sel:[0,0,1] op_sel_hi:[0,1,0] neg_lo:[0,0,1] neg_hi:[0,0,1]
	ds_read2_b64 v[4:7], v97 offset0:100 offset1:125
	s_waitcnt lgkmcnt(1)
	v_pk_mul_f32 v[104:105], v[16:17], v[2:3] op_sel:[1,0]
	v_mov_b32_e32 v31, v29
	v_pk_fma_f32 v[108:109], v[16:17], v[2:3], v[104:105] op_sel:[0,0,1] op_sel_hi:[1,1,0]
	v_pk_fma_f32 v[16:17], v[16:17], v[2:3], v[104:105] op_sel:[0,0,1] op_sel_hi:[0,1,0] neg_lo:[0,0,1] neg_hi:[0,0,1]
	v_pk_mul_f32 v[2:3], v[106:107], v[0:1] op_sel_hi:[0,1]
	s_waitcnt lgkmcnt(0)
	v_pk_mul_f32 v[106:107], v[24:25], v[6:7] op_sel:[1,0]
	v_pk_fma_f32 v[104:105], v[26:27], v[0:1], v[2:3] op_sel:[0,0,1] op_sel_hi:[1,1,0]
	v_pk_fma_f32 v[26:27], v[26:27], v[0:1], v[2:3] op_sel:[0,0,1] op_sel_hi:[0,1,0] neg_lo:[0,0,1] neg_hi:[0,0,1]
	v_pk_fma_f32 v[120:121], v[24:25], v[6:7], v[106:107] op_sel:[0,0,1] op_sel_hi:[1,1,0]
	ds_read2_b64 v[0:3], v97 offset0:150 offset1:175
	v_pk_fma_f32 v[24:25], v[24:25], v[6:7], v[106:107] op_sel:[0,0,1] op_sel_hi:[0,1,0] neg_lo:[0,0,1] neg_hi:[0,0,1]
	v_pk_mul_f32 v[6:7], v[32:33], v[4:5] op_sel:[1,0]
	v_mov_b32_e32 v109, v17
	v_pk_fma_f32 v[106:107], v[32:33], v[4:5], v[6:7] op_sel:[0,0,1] op_sel_hi:[1,1,0]
	v_pk_fma_f32 v[122:123], v[32:33], v[4:5], v[6:7] op_sel:[0,0,1] op_sel_hi:[0,1,0] neg_lo:[0,0,1] neg_hi:[0,0,1]
	ds_read2_b64 v[4:7], v97 offset0:50 offset1:75
	s_waitcnt lgkmcnt(1)
	v_pk_mul_f32 v[124:125], v[102:103], v[0:1] op_sel_hi:[0,1]
	v_pk_mul_f32 v[102:103], v[102:103], v[2:3] op_sel_hi:[0,1]
	v_pk_fma_f32 v[126:127], v[34:35], v[0:1], v[124:125] op_sel:[0,0,1] op_sel_hi:[1,1,0]
	v_pk_fma_f32 v[0:1], v[34:35], v[0:1], v[124:125] op_sel:[0,0,1] op_sel_hi:[0,1,0] neg_lo:[0,0,1] neg_hi:[0,0,1]
	v_pk_fma_f32 v[124:125], v[34:35], v[2:3], v[102:103] op_sel:[0,0,1] op_sel_hi:[1,1,0]
	v_pk_fma_f32 v[34:35], v[34:35], v[2:3], v[102:103] op_sel:[0,0,1] op_sel_hi:[0,1,0] neg_lo:[0,0,1] neg_hi:[0,0,1]
	s_waitcnt lgkmcnt(0)
	v_pk_mul_f32 v[2:3], v[32:33], v[6:7] op_sel:[1,0]
	v_mov_b32_e32 v127, v1
	v_pk_fma_f32 v[102:103], v[32:33], v[6:7], v[2:3] op_sel:[0,0,1] op_sel_hi:[1,1,0]
	v_pk_fma_f32 v[2:3], v[32:33], v[6:7], v[2:3] op_sel:[0,0,1] op_sel_hi:[0,1,0] neg_lo:[0,0,1] neg_hi:[0,0,1]
	v_mov_b32_e32 v103, v3
	ds_read2_b64 v[0:3], v97 offset1:25
	v_pk_add_f32 v[6:7], v[102:103], v[126:127] neg_lo:[0,1] neg_hi:[0,1]
	v_pk_add_f32 v[16:17], v[30:31], v[108:109] neg_lo:[0,1] neg_hi:[0,1]
	;; [unrolled: 1-line block ×3, first 2 shown]
	v_pk_add_f32 v[6:7], v[6:7], v[16:17]
	v_pk_add_f32 v[16:17], v[126:127], v[108:109]
	v_pk_mul_f32 v[32:33], v[28:29], s[2:3] op_sel_hi:[1,0]
	s_waitcnt lgkmcnt(0)
	v_pk_fma_f32 v[16:17], v[16:17], 0.5, v[0:1] op_sel_hi:[1,0,1] neg_lo:[1,0,0] neg_hi:[1,0,0]
	v_pk_mul_f32 v[28:29], v[28:29], s[14:15] op_sel_hi:[1,0]
	v_pk_add_f32 v[128:129], v[16:17], v[32:33] op_sel:[0,1] op_sel_hi:[1,0] neg_lo:[0,1] neg_hi:[0,1]
	v_pk_add_f32 v[16:17], v[16:17], v[32:33] op_sel:[0,1] op_sel_hi:[1,0]
	v_pk_add_f32 v[32:33], v[126:127], v[108:109] neg_lo:[0,1] neg_hi:[0,1]
	v_mov_b32_e32 v107, v123
	v_pk_mul_f32 v[130:131], v[32:33], s[14:15] op_sel_hi:[1,0]
	v_pk_mul_f32 v[32:33], v[32:33], s[2:3] op_sel_hi:[1,0]
	v_pk_add_f32 v[16:17], v[16:17], v[130:131] op_sel:[0,1] op_sel_hi:[1,0]
	v_pk_add_f32 v[128:129], v[128:129], v[130:131] op_sel:[0,1] op_sel_hi:[1,0] neg_lo:[0,1] neg_hi:[0,1]
	v_pk_add_f32 v[130:131], v[0:1], v[102:103]
	v_mov_b32_e32 v132, v128
	v_pk_add_f32 v[130:131], v[130:131], v[126:127]
	v_pk_add_f32 v[126:127], v[126:127], v[102:103] neg_lo:[0,1] neg_hi:[0,1]
	v_pk_add_f32 v[102:103], v[102:103], v[30:31]
	v_pk_add_f32 v[130:131], v[130:131], v[108:109]
	v_pk_fma_f32 v[0:1], v[102:103], 0.5, v[0:1] op_sel_hi:[1,0,1] neg_lo:[1,0,0] neg_hi:[1,0,0]
	v_pk_add_f32 v[130:131], v[130:131], v[30:31]
	v_pk_add_f32 v[102:103], v[0:1], v[32:33] op_sel:[0,1] op_sel_hi:[1,0]
	v_pk_add_f32 v[0:1], v[0:1], v[32:33] op_sel:[0,1] op_sel_hi:[1,0] neg_lo:[0,1] neg_hi:[0,1]
	v_pk_add_f32 v[30:31], v[108:109], v[30:31] neg_lo:[0,1] neg_hi:[0,1]
	v_pk_add_f32 v[0:1], v[0:1], v[28:29] op_sel:[0,1] op_sel_hi:[1,0]
	v_pk_add_f32 v[28:29], v[102:103], v[28:29] op_sel:[0,1] op_sel_hi:[1,0] neg_lo:[0,1] neg_hi:[0,1]
	v_pk_add_f32 v[30:31], v[126:127], v[30:31]
	v_mov_b32_e32 v32, v28
	v_mov_b32_e32 v33, v1
	;; [unrolled: 1-line block ×4, first 2 shown]
	v_pk_fma_f32 v[28:29], v[30:31], s[12:13], v[32:33] op_sel_hi:[1,0,1]
	v_pk_fma_f32 v[0:1], v[30:31], s[12:13], v[0:1] op_sel_hi:[1,0,1]
	v_mov_b32_e32 v17, v129
	v_pk_fma_f32 v[132:133], v[6:7], s[12:13], v[132:133] op_sel_hi:[1,0,1]
	s_barrier
	ds_write2_b64 v97, v[28:29], v[0:1] offset0:50 offset1:75
	v_pk_fma_f32 v[0:1], v[6:7], s[12:13], v[16:17] op_sel_hi:[1,0,1]
	v_mov_b32_e32 v125, v35
	v_pk_add_f32 v[6:7], v[2:3], v[106:107]
	v_mov_b32_e32 v21, v23
	v_pk_add_f32 v[6:7], v[6:7], v[124:125]
	;; [unrolled: 2-line block ×3, first 2 shown]
	v_pk_add_f32 v[10:11], v[36:37], v[20:21] neg_lo:[0,1] neg_hi:[0,1]
	v_pk_add_f32 v[6:7], v[6:7], v[36:37]
	ds_write2_b64 v97, v[0:1], v[6:7] offset0:100 offset1:125
	v_pk_add_f32 v[0:1], v[124:125], v[20:21]
	v_pk_add_f32 v[6:7], v[106:107], v[36:37]
	v_pk_fma_f32 v[0:1], v[0:1], 0.5, v[2:3] op_sel_hi:[1,0,1] neg_lo:[1,0,0] neg_hi:[1,0,0]
	v_pk_fma_f32 v[2:3], v[6:7], 0.5, v[2:3] op_sel_hi:[1,0,1] neg_lo:[1,0,0] neg_hi:[1,0,0]
	v_pk_add_f32 v[6:7], v[106:107], v[124:125] neg_lo:[0,1] neg_hi:[0,1]
	v_mov_b32_e32 v15, v13
	v_pk_add_f32 v[6:7], v[6:7], v[10:11]
	v_pk_add_f32 v[10:11], v[106:107], v[36:37] neg_lo:[0,1] neg_hi:[0,1]
	v_pk_add_f32 v[16:17], v[124:125], v[20:21] neg_lo:[0,1] neg_hi:[0,1]
	v_pk_fma_f32 v[12:13], v[10:11], s[2:3], v[0:1] op_sel:[1,0,0] op_sel_hi:[0,0,1]
	v_pk_fma_f32 v[0:1], v[10:11], s[2:3], v[0:1] op_sel:[1,0,0] op_sel_hi:[0,0,1] neg_lo:[1,0,0] neg_hi:[1,0,0]
	v_pk_fma_f32 v[0:1], v[16:17], s[14:15], v[0:1] op_sel:[1,0,0] op_sel_hi:[0,0,1] neg_lo:[1,0,0] neg_hi:[1,0,0]
	v_pk_fma_f32 v[12:13], v[16:17], s[14:15], v[12:13] op_sel:[1,0,0] op_sel_hi:[0,0,1]
	v_mov_b32_e32 v22, v12
	v_mov_b32_e32 v23, v1
	;; [unrolled: 1-line block ×3, first 2 shown]
	v_pk_fma_f32 v[12:13], v[6:7], s[12:13], v[22:23] op_sel_hi:[1,0,1]
	v_pk_fma_f32 v[0:1], v[6:7], s[12:13], v[0:1] op_sel_hi:[1,0,1]
	v_pk_add_f32 v[6:7], v[124:125], v[106:107] neg_lo:[0,1] neg_hi:[0,1]
	v_pk_add_f32 v[20:21], v[20:21], v[36:37] neg_lo:[0,1] neg_hi:[0,1]
	v_mov_b32_e32 v121, v25
	v_pk_add_f32 v[6:7], v[6:7], v[20:21]
	v_pk_fma_f32 v[20:21], v[16:17], s[2:3], v[2:3] op_sel:[1,0,0] op_sel_hi:[0,0,1] neg_lo:[1,0,0] neg_hi:[1,0,0]
	v_pk_fma_f32 v[2:3], v[16:17], s[2:3], v[2:3] op_sel:[1,0,0] op_sel_hi:[0,0,1]
	v_pk_fma_f32 v[2:3], v[10:11], s[14:15], v[2:3] op_sel:[1,0,0] op_sel_hi:[0,0,1] neg_lo:[1,0,0] neg_hi:[1,0,0]
	v_pk_fma_f32 v[10:11], v[10:11], s[14:15], v[20:21] op_sel:[1,0,0] op_sel_hi:[0,0,1]
	v_mov_b32_e32 v16, v10
	v_mov_b32_e32 v17, v3
	;; [unrolled: 1-line block ×4, first 2 shown]
	v_pk_fma_f32 v[10:11], v[6:7], s[12:13], v[16:17] op_sel_hi:[1,0,1]
	v_pk_fma_f32 v[2:3], v[6:7], s[12:13], v[2:3] op_sel_hi:[1,0,1]
	ds_write2_b64 v97, v[130:131], v[132:133] offset1:25
	ds_write2_b64 v97, v[0:1], v[2:3] offset0:150 offset1:175
	ds_write2_b64 v97, v[10:11], v[12:13] offset0:200 offset1:225
	v_pk_add_f32 v[0:1], v[104:105], v[14:15]
	v_pk_add_f32 v[2:3], v[120:121], v[8:9] neg_lo:[0,1] neg_hi:[0,1]
	v_pk_add_f32 v[6:7], v[120:121], v[104:105] neg_lo:[0,1] neg_hi:[0,1]
	;; [unrolled: 1-line block ×3, first 2 shown]
	v_pk_fma_f32 v[0:1], v[0:1], 0.5, v[4:5] op_sel_hi:[1,0,1] neg_lo:[1,0,0] neg_hi:[1,0,0]
	v_pk_add_f32 v[6:7], v[6:7], v[10:11]
	v_pk_mul_f32 v[10:11], v[2:3], s[2:3] op_sel_hi:[1,0]
	v_pk_mul_f32 v[2:3], v[2:3], s[14:15] op_sel_hi:[1,0]
	v_pk_add_f32 v[12:13], v[0:1], v[10:11] op_sel:[0,1] op_sel_hi:[1,0] neg_lo:[0,1] neg_hi:[0,1]
	v_pk_add_f32 v[0:1], v[0:1], v[10:11] op_sel:[0,1] op_sel_hi:[1,0]
	v_pk_add_f32 v[10:11], v[104:105], v[14:15] neg_lo:[0,1] neg_hi:[0,1]
	s_nop 0
	v_pk_mul_f32 v[16:17], v[10:11], s[14:15] op_sel_hi:[1,0]
	v_pk_mul_f32 v[10:11], v[10:11], s[2:3] op_sel_hi:[1,0]
	v_pk_add_f32 v[0:1], v[0:1], v[16:17] op_sel:[0,1] op_sel_hi:[1,0]
	v_pk_add_f32 v[12:13], v[12:13], v[16:17] op_sel:[0,1] op_sel_hi:[1,0] neg_lo:[0,1] neg_hi:[0,1]
	v_pk_add_f32 v[16:17], v[4:5], v[120:121]
	v_mov_b32_e32 v20, v12
	v_pk_add_f32 v[16:17], v[16:17], v[104:105]
	v_mov_b32_e32 v21, v1
	v_pk_add_f32 v[16:17], v[16:17], v[14:15]
	v_pk_fma_f32 v[20:21], v[6:7], s[12:13], v[20:21] op_sel_hi:[1,0,1]
	v_pk_add_f32 v[16:17], v[16:17], v[8:9]
	ds_write2_b64 v115, v[16:17], v[20:21] offset0:122 offset1:147
	v_pk_add_f32 v[16:17], v[120:121], v[8:9]
	v_pk_add_f32 v[8:9], v[14:15], v[8:9] neg_lo:[0,1] neg_hi:[0,1]
	v_pk_fma_f32 v[4:5], v[16:17], 0.5, v[4:5] op_sel_hi:[1,0,1] neg_lo:[1,0,0] neg_hi:[1,0,0]
	v_pk_add_f32 v[16:17], v[104:105], v[120:121] neg_lo:[0,1] neg_hi:[0,1]
	v_pk_add_f32 v[14:15], v[4:5], v[10:11] op_sel:[0,1] op_sel_hi:[1,0]
	v_pk_add_f32 v[4:5], v[4:5], v[10:11] op_sel:[0,1] op_sel_hi:[1,0] neg_lo:[0,1] neg_hi:[0,1]
	v_pk_add_f32 v[8:9], v[16:17], v[8:9]
	v_pk_add_f32 v[4:5], v[4:5], v[2:3] op_sel:[0,1] op_sel_hi:[1,0]
	v_pk_add_f32 v[2:3], v[14:15], v[2:3] op_sel:[0,1] op_sel_hi:[1,0] neg_lo:[0,1] neg_hi:[0,1]
	v_mov_b32_e32 v11, v5
	v_mov_b32_e32 v10, v2
	;; [unrolled: 1-line block ×4, first 2 shown]
	v_pk_fma_f32 v[10:11], v[8:9], s[12:13], v[10:11] op_sel_hi:[1,0,1]
	v_pk_fma_f32 v[2:3], v[8:9], s[12:13], v[4:5] op_sel_hi:[1,0,1]
	;; [unrolled: 1-line block ×3, first 2 shown]
	ds_write2_b64 v117, v[10:11], v[2:3] offset0:44 offset1:69
	ds_write_b64 v19, v[0:1] offset:2800
	s_waitcnt lgkmcnt(0)
	s_barrier
	ds_read2_b64 v[0:3], v97 offset0:100 offset1:125
	ds_read2_b64 v[4:7], v99 offset0:122 offset1:147
	ds_read2_b64 v[8:11], v97 offset1:25
	v_mov_b32_e32 v20, s0
	v_mov_b32_e32 v21, s1
	v_mad_u64_u32 v[16:17], s[0:1], s6, v76, 0
	s_waitcnt lgkmcnt(2)
	v_pk_mul_f32 v[12:13], v[40:41], v[2:3] op_sel:[1,0]
	s_nop 0
	v_pk_fma_f32 v[18:19], v[40:41], v[2:3], v[12:13] op_sel:[0,0,1] op_sel_hi:[1,1,0]
	v_pk_fma_f32 v[12:13], v[40:41], v[2:3], v[12:13] op_sel:[0,0,1] op_sel_hi:[0,1,0] neg_lo:[0,0,1] neg_hi:[0,0,1]
	s_waitcnt lgkmcnt(1)
	v_pk_mul_f32 v[2:3], v[116:117], v[4:5] op_sel_hi:[0,1]
	v_pk_fma_f32 v[22:23], v[42:43], v[4:5], v[2:3] op_sel:[0,0,1] op_sel_hi:[1,1,0]
	v_pk_fma_f32 v[14:15], v[42:43], v[4:5], v[2:3] op_sel:[0,0,1] op_sel_hi:[0,1,0] neg_lo:[0,0,1] neg_hi:[0,0,1]
	ds_read2_b64 v[2:5], v97 offset0:150 offset1:175
	v_mov_b32_e32 v19, v13
	v_pk_mul_f32 v[12:13], v[114:115], v[6:7] op_sel_hi:[0,1]
	v_pk_fma_f32 v[24:25], v[46:47], v[6:7], v[12:13] op_sel:[0,0,1] op_sel_hi:[1,1,0]
	v_pk_fma_f32 v[6:7], v[46:47], v[6:7], v[12:13] op_sel:[0,0,1] op_sel_hi:[0,1,0] neg_lo:[0,0,1] neg_hi:[0,0,1]
	s_waitcnt lgkmcnt(0)
	v_pk_mul_f32 v[12:13], v[44:45], v[2:3] op_sel:[1,0]
	v_mov_b32_e32 v23, v15
	v_pk_fma_f32 v[26:27], v[44:45], v[2:3], v[12:13] op_sel:[0,0,1] op_sel_hi:[1,1,0]
	v_pk_fma_f32 v[12:13], v[44:45], v[2:3], v[12:13] op_sel:[0,0,1] op_sel_hi:[0,1,0] neg_lo:[0,0,1] neg_hi:[0,0,1]
	v_pk_mul_f32 v[2:3], v[48:49], v[4:5] op_sel:[1,0]
	v_pk_add_f32 v[14:15], v[8:9], v[18:19]
	v_pk_fma_f32 v[28:29], v[48:49], v[4:5], v[2:3] op_sel:[0,0,1] op_sel_hi:[1,1,0]
	v_pk_fma_f32 v[30:31], v[48:49], v[4:5], v[2:3] op_sel:[0,0,1] op_sel_hi:[0,1,0] neg_lo:[0,0,1] neg_hi:[0,0,1]
	ds_read2_b64 v[2:5], v101 offset0:44 offset1:69
	v_mov_b32_e32 v27, v13
	v_pk_add_f32 v[32:33], v[14:15], v[22:23]
	v_mov_b32_e32 v25, v7
	v_mov_b32_e32 v29, v31
	s_waitcnt lgkmcnt(0)
	v_pk_mul_f32 v[12:13], v[110:111], v[2:3] op_sel_hi:[0,1]
	v_pk_fma_f32 v[34:35], v[50:51], v[2:3], v[12:13] op_sel:[0,0,1] op_sel_hi:[1,1,0]
	v_pk_fma_f32 v[36:37], v[50:51], v[2:3], v[12:13] op_sel:[0,0,1] op_sel_hi:[0,1,0] neg_lo:[0,0,1] neg_hi:[0,0,1]
	ds_read2_b64 v[12:15], v97 offset0:200 offset1:225
	v_pk_mul_f32 v[2:3], v[112:113], v[4:5] op_sel_hi:[0,1]
	v_pk_fma_f32 v[6:7], v[54:55], v[4:5], v[2:3] op_sel:[0,0,1] op_sel_hi:[1,1,0]
	v_pk_fma_f32 v[38:39], v[54:55], v[4:5], v[2:3] op_sel:[0,0,1] op_sel_hi:[0,1,0] neg_lo:[0,0,1] neg_hi:[0,0,1]
	v_pk_add_f32 v[30:31], v[10:11], v[26:27]
	s_waitcnt lgkmcnt(0)
	v_pk_mul_f32 v[2:3], v[52:53], v[12:13] op_sel:[1,0]
	v_pk_add_f32 v[30:31], v[30:31], v[24:25]
	v_pk_fma_f32 v[40:41], v[52:53], v[12:13], v[2:3] op_sel:[0,0,1] op_sel_hi:[1,1,0]
	v_pk_fma_f32 v[12:13], v[52:53], v[12:13], v[2:3] op_sel:[0,0,1] op_sel_hi:[0,1,0] neg_lo:[0,0,1] neg_hi:[0,0,1]
	v_mov_b32_e32 v41, v13
	ds_read_b64 v[12:13], v97 offset:2800
	v_pk_mul_f32 v[2:3], v[56:57], v[14:15] op_sel:[1,0]
	v_mov_b32_e32 v35, v37
	v_pk_fma_f32 v[42:43], v[56:57], v[14:15], v[2:3] op_sel:[0,0,1] op_sel_hi:[1,1,0]
	v_pk_fma_f32 v[14:15], v[56:57], v[14:15], v[2:3] op_sel:[0,0,1] op_sel_hi:[0,1,0] neg_lo:[0,0,1] neg_hi:[0,0,1]
	v_mov_b32_e32 v43, v15
	s_waitcnt lgkmcnt(0)
	v_pk_mul_f32 v[14:15], v[118:119], v[12:13] op_sel_hi:[0,1]
	v_pk_fma_f32 v[44:45], v[58:59], v[12:13], v[14:15] op_sel:[0,0,1] op_sel_hi:[1,1,0]
	v_pk_fma_f32 v[12:13], v[58:59], v[12:13], v[14:15] op_sel:[0,0,1] op_sel_hi:[0,1,0] neg_lo:[0,0,1] neg_hi:[0,0,1]
	v_pk_add_f32 v[14:15], v[18:19], v[22:23]
	ds_read2_b64 v[2:5], v97 offset0:50 offset1:75
	v_pk_fma_f32 v[8:9], v[14:15], 0.5, v[8:9] op_sel_hi:[1,0,1] neg_lo:[1,0,0] neg_hi:[1,0,0]
	v_pk_add_f32 v[14:15], v[18:19], v[22:23] neg_lo:[0,1] neg_hi:[0,1]
	v_mov_b32_e32 v7, v39
	v_pk_mul_f32 v[14:15], v[14:15], s[10:11] op_sel_hi:[1,0]
	s_waitcnt lgkmcnt(0)
	v_pk_add_f32 v[36:37], v[2:3], v[28:29]
	v_pk_add_f32 v[18:19], v[8:9], v[14:15] op_sel:[0,1] op_sel_hi:[1,0] neg_lo:[0,1] neg_hi:[0,1]
	v_pk_add_f32 v[8:9], v[8:9], v[14:15] op_sel:[0,1] op_sel_hi:[1,0]
	v_mov_b32_e32 v14, v18
	v_mov_b32_e32 v15, v9
	;; [unrolled: 1-line block ×3, first 2 shown]
	ds_write_b64 v97, v[14:15] offset:1000
	ds_write_b64 v97, v[8:9] offset:2000
	ds_write2_b64 v97, v[32:33], v[30:31] offset1:25
	v_pk_add_f32 v[8:9], v[26:27], v[24:25]
	v_pk_add_f32 v[38:39], v[4:5], v[40:41]
	v_pk_fma_f32 v[8:9], v[8:9], 0.5, v[10:11] op_sel_hi:[1,0,1] neg_lo:[1,0,0] neg_hi:[1,0,0]
	v_pk_add_f32 v[10:11], v[26:27], v[24:25] neg_lo:[0,1] neg_hi:[0,1]
	v_pk_add_f32 v[38:39], v[38:39], v[6:7]
	v_pk_mul_f32 v[10:11], v[10:11], s[10:11] op_sel_hi:[1,0]
	v_pk_add_f32 v[36:37], v[36:37], v[34:35]
	v_pk_add_f32 v[14:15], v[8:9], v[10:11] op_sel:[0,1] op_sel_hi:[1,0] neg_lo:[0,1] neg_hi:[0,1]
	v_pk_add_f32 v[8:9], v[8:9], v[10:11] op_sel:[0,1] op_sel_hi:[1,0]
	v_mov_b32_e32 v10, v14
	v_mov_b32_e32 v11, v9
	;; [unrolled: 1-line block ×3, first 2 shown]
	ds_write_b64 v97, v[8:9] offset:2200
	v_pk_add_f32 v[8:9], v[28:29], v[34:35]
	v_mov_b32_e32 v45, v13
	v_pk_fma_f32 v[2:3], v[8:9], 0.5, v[2:3] op_sel_hi:[1,0,1] neg_lo:[1,0,0] neg_hi:[1,0,0]
	v_pk_add_f32 v[8:9], v[28:29], v[34:35] neg_lo:[0,1] neg_hi:[0,1]
	v_pk_add_f32 v[12:13], v[0:1], v[42:43]
	v_pk_mul_f32 v[8:9], v[8:9], s[10:11] op_sel_hi:[1,0]
	v_pk_add_f32 v[12:13], v[12:13], v[44:45]
	v_pk_add_f32 v[14:15], v[2:3], v[8:9] op_sel:[0,1] op_sel_hi:[1,0] neg_lo:[0,1] neg_hi:[0,1]
	v_pk_add_f32 v[2:3], v[2:3], v[8:9] op_sel:[0,1] op_sel_hi:[1,0]
	v_mov_b32_e32 v8, v14
	v_mov_b32_e32 v9, v3
	ds_write2_b64 v97, v[10:11], v[8:9] offset0:150 offset1:175
	v_pk_add_f32 v[8:9], v[40:41], v[6:7]
	v_pk_add_f32 v[6:7], v[40:41], v[6:7] neg_lo:[0,1] neg_hi:[0,1]
	v_pk_fma_f32 v[4:5], v[8:9], 0.5, v[4:5] op_sel_hi:[1,0,1] neg_lo:[1,0,0] neg_hi:[1,0,0]
	v_pk_mul_f32 v[6:7], v[6:7], s[10:11] op_sel_hi:[1,0]
	v_mov_b32_e32 v3, v15
	v_pk_add_f32 v[8:9], v[4:5], v[6:7] op_sel:[0,1] op_sel_hi:[1,0] neg_lo:[0,1] neg_hi:[0,1]
	v_pk_add_f32 v[4:5], v[4:5], v[6:7] op_sel:[0,1] op_sel_hi:[1,0]
	ds_write2_b64 v97, v[36:37], v[38:39] offset0:50 offset1:75
	v_mov_b32_e32 v7, v5
	v_mov_b32_e32 v5, v9
	ds_write2_b64 v101, v[2:3], v[4:5] offset0:44 offset1:69
	ds_write_b64 v97, v[12:13] offset:800
	v_pk_add_f32 v[2:3], v[42:43], v[44:45]
	v_mov_b32_e32 v6, v8
	v_pk_fma_f32 v[0:1], v[2:3], 0.5, v[0:1] op_sel_hi:[1,0,1] neg_lo:[1,0,0] neg_hi:[1,0,0]
	v_pk_add_f32 v[2:3], v[42:43], v[44:45] neg_lo:[0,1] neg_hi:[0,1]
	s_nop 0
	v_pk_mul_f32 v[2:3], v[2:3], s[10:11] op_sel_hi:[1,0]
	s_nop 0
	v_pk_add_f32 v[4:5], v[0:1], v[2:3] op_sel:[0,1] op_sel_hi:[1,0] neg_lo:[0,1] neg_hi:[0,1]
	v_pk_add_f32 v[0:1], v[0:1], v[2:3] op_sel:[0,1] op_sel_hi:[1,0]
	v_mov_b32_e32 v2, v4
	v_mov_b32_e32 v3, v1
	;; [unrolled: 1-line block ×3, first 2 shown]
	ds_write2_b64 v97, v[6:7], v[2:3] offset0:200 offset1:225
	ds_write_b64 v97, v[0:1] offset:2800
	s_waitcnt lgkmcnt(0)
	s_barrier
	ds_read2_b64 v[0:3], v97 offset1:25
	v_mov_b32_e32 v4, v17
	v_mad_u64_u32 v[4:5], s[0:1], s7, v76, v[4:5]
	v_mov_b32_e32 v17, v4
	s_waitcnt lgkmcnt(0)
	v_mul_f32_e32 v4, v93, v1
	v_fmac_f32_e32 v4, v92, v0
	v_mul_f32_e32 v0, v93, v0
	s_mov_b32 s0, 0xc3ece2a5
	v_fma_f32 v0, v92, v1, -v0
	s_mov_b32 s1, 0x3f65d867
	v_cvt_f64_f32_e32 v[0:1], v0
	v_cvt_f64_f32_e32 v[4:5], v4
	v_mul_f64 v[0:1], v[0:1], s[0:1]
	v_mul_f64 v[4:5], v[4:5], s[0:1]
	v_cvt_f32_f64_e32 v9, v[0:1]
	v_mad_u64_u32 v[0:1], s[2:3], s4, v86, 0
	v_cvt_f32_f64_e32 v8, v[4:5]
	v_mov_b32_e32 v4, v1
	v_mad_u64_u32 v[10:11], s[2:3], s5, v86, v[4:5]
	ds_read2_b64 v[4:7], v97 offset0:50 offset1:75
	v_mov_b32_e32 v1, v10
	v_lshl_add_u64 v[10:11], v[16:17], 3, v[20:21]
	v_lshl_add_u64 v[0:1], v[0:1], 3, v[10:11]
	global_store_dwordx2 v[0:1], v[8:9], off
	s_waitcnt lgkmcnt(0)
	v_mul_f32_e32 v8, v91, v7
	v_fmac_f32_e32 v8, v90, v6
	v_mul_f32_e32 v6, v91, v6
	v_fma_f32 v6, v90, v7, -v6
	v_cvt_f64_f32_e32 v[8:9], v8
	v_cvt_f64_f32_e32 v[6:7], v6
	v_mul_f64 v[8:9], v[8:9], s[0:1]
	v_mul_f64 v[6:7], v[6:7], s[0:1]
	v_cvt_f32_f64_e32 v10, v[8:9]
	v_cvt_f32_f64_e32 v11, v[6:7]
	ds_read2_b64 v[6:9], v97 offset0:150 offset1:175
	v_mad_u64_u32 v[0:1], s[2:3], s4, v77, v[0:1]
	s_mul_i32 s2, s5, 0x258
	s_nop 0
	v_add_u32_e32 v1, s2, v1
	global_store_dwordx2 v[0:1], v[10:11], off
	s_waitcnt lgkmcnt(0)
	v_mul_f32_e32 v10, v89, v7
	v_fmac_f32_e32 v10, v88, v6
	v_cvt_f64_f32_e32 v[10:11], v10
	v_mul_f64 v[10:11], v[10:11], s[0:1]
	v_cvt_f32_f64_e32 v14, v[10:11]
	ds_read2_b64 v[10:13], v97 offset0:200 offset1:225
	v_mul_f32_e32 v6, v89, v6
	v_fma_f32 v6, v88, v7, -v6
	v_cvt_f64_f32_e32 v[6:7], v6
	v_mul_f64 v[6:7], v[6:7], s[0:1]
	v_cvt_f32_f64_e32 v15, v[6:7]
	s_waitcnt lgkmcnt(0)
	v_mul_f32_e32 v6, v85, v13
	v_fmac_f32_e32 v6, v84, v12
	v_cvt_f64_f32_e32 v[6:7], v6
	v_mul_f64 v[6:7], v[6:7], s[0:1]
	v_cvt_f32_f64_e32 v6, v[6:7]
	v_mul_f32_e32 v7, v85, v12
	v_fma_f32 v7, v84, v13, -v7
	v_mad_u64_u32 v[0:1], s[6:7], s4, v77, v[0:1]
	v_cvt_f64_f32_e32 v[12:13], v7
	v_add_u32_e32 v1, s2, v1
	v_mul_f64 v[12:13], v[12:13], s[0:1]
	global_store_dwordx2 v[0:1], v[14:15], off
	v_cvt_f32_f64_e32 v7, v[12:13]
	ds_read2_b64 v[12:15], v101 offset0:44 offset1:69
	v_mad_u64_u32 v[0:1], s[6:7], s4, v77, v[0:1]
	v_add_u32_e32 v1, s2, v1
	global_store_dwordx2 v[0:1], v[6:7], off
	s_waitcnt lgkmcnt(0)
	v_mul_f32_e32 v6, v81, v13
	v_fmac_f32_e32 v6, v80, v12
	v_cvt_f64_f32_e32 v[6:7], v6
	v_mul_f64 v[6:7], v[6:7], s[0:1]
	v_cvt_f32_f64_e32 v6, v[6:7]
	v_mul_f32_e32 v7, v81, v12
	v_fma_f32 v7, v80, v13, -v7
	v_cvt_f64_f32_e32 v[12:13], v7
	v_mul_f64 v[12:13], v[12:13], s[0:1]
	v_mad_u64_u32 v[0:1], s[6:7], s4, v77, v[0:1]
	v_cvt_f32_f64_e32 v7, v[12:13]
	v_add_u32_e32 v1, s2, v1
	global_store_dwordx2 v[0:1], v[6:7], off
	v_mul_f32_e32 v6, v83, v3
	v_fmac_f32_e32 v6, v82, v2
	v_mul_f32_e32 v2, v83, v2
	v_fma_f32 v2, v82, v3, -v2
	v_cvt_f64_f32_e32 v[6:7], v6
	v_cvt_f64_f32_e32 v[2:3], v2
	v_mul_f64 v[6:7], v[6:7], s[0:1]
	v_mul_f64 v[2:3], v[2:3], s[0:1]
	v_cvt_f32_f64_e32 v6, v[6:7]
	v_cvt_f32_f64_e32 v7, v[2:3]
	v_mad_u64_u32 v[12:13], s[6:7], s4, v95, v[0:1]
	ds_read2_b64 v[0:3], v97 offset0:100 offset1:125
	s_mul_i32 s3, s5, 0xfffff768
	s_sub_i32 s3, s3, s4
	v_add_u32_e32 v13, s3, v13
	global_store_dwordx2 v[12:13], v[6:7], off
	s_waitcnt lgkmcnt(0)
	v_mul_f32_e32 v6, v79, v1
	v_fmac_f32_e32 v6, v78, v0
	v_mul_f32_e32 v0, v79, v0
	v_fma_f32 v0, v78, v1, -v0
	v_cvt_f64_f32_e32 v[6:7], v6
	v_cvt_f64_f32_e32 v[0:1], v0
	v_mul_f64 v[6:7], v[6:7], s[0:1]
	v_mul_f64 v[0:1], v[0:1], s[0:1]
	v_cvt_f32_f64_e32 v6, v[6:7]
	v_cvt_f32_f64_e32 v7, v[0:1]
	v_mad_u64_u32 v[0:1], s[6:7], s4, v77, v[12:13]
	v_add_u32_e32 v1, s2, v1
	global_store_dwordx2 v[0:1], v[6:7], off
	v_mul_f32_e32 v6, v75, v9
	v_fmac_f32_e32 v6, v74, v8
	v_cvt_f64_f32_e32 v[6:7], v6
	v_mul_f64 v[6:7], v[6:7], s[0:1]
	v_cvt_f32_f64_e32 v12, v[6:7]
	v_mul_f32_e32 v6, v75, v8
	v_fma_f32 v6, v74, v9, -v6
	v_cvt_f64_f32_e32 v[6:7], v6
	v_mul_f64 v[6:7], v[6:7], s[0:1]
	v_cvt_f32_f64_e32 v13, v[6:7]
	ds_read2_b64 v[6:9], v99 offset0:122 offset1:147
	v_mad_u64_u32 v[0:1], s[6:7], s4, v77, v[0:1]
	v_add_u32_e32 v1, s2, v1
	global_store_dwordx2 v[0:1], v[12:13], off
	s_waitcnt lgkmcnt(0)
	v_mul_f32_e32 v12, v71, v7
	v_fmac_f32_e32 v12, v70, v6
	v_mul_f32_e32 v6, v71, v6
	v_fma_f32 v6, v70, v7, -v6
	v_cvt_f64_f32_e32 v[12:13], v12
	v_cvt_f64_f32_e32 v[6:7], v6
	v_mul_f64 v[12:13], v[12:13], s[0:1]
	v_mul_f64 v[6:7], v[6:7], s[0:1]
	v_cvt_f32_f64_e32 v12, v[12:13]
	v_cvt_f32_f64_e32 v13, v[6:7]
	v_mul_f32_e32 v6, v69, v15
	v_fmac_f32_e32 v6, v68, v14
	v_cvt_f64_f32_e32 v[6:7], v6
	v_mul_f64 v[6:7], v[6:7], s[0:1]
	v_mad_u64_u32 v[0:1], s[6:7], s4, v77, v[0:1]
	v_cvt_f32_f64_e32 v6, v[6:7]
	v_mul_f32_e32 v7, v69, v14
	v_add_u32_e32 v1, s2, v1
	v_fma_f32 v7, v68, v15, -v7
	global_store_dwordx2 v[0:1], v[12:13], off
	v_cvt_f64_f32_e32 v[12:13], v7
	v_mul_f64 v[12:13], v[12:13], s[0:1]
	v_mad_u64_u32 v[0:1], s[6:7], s4, v77, v[0:1]
	v_cvt_f32_f64_e32 v7, v[12:13]
	v_add_u32_e32 v1, s2, v1
	global_store_dwordx2 v[0:1], v[6:7], off
	v_mul_f32_e32 v6, v67, v5
	v_fmac_f32_e32 v6, v66, v4
	v_mul_f32_e32 v4, v67, v4
	v_fma_f32 v4, v66, v5, -v4
	v_cvt_f64_f32_e32 v[6:7], v6
	v_cvt_f64_f32_e32 v[4:5], v4
	v_mul_f64 v[6:7], v[6:7], s[0:1]
	v_mul_f64 v[4:5], v[4:5], s[0:1]
	v_cvt_f32_f64_e32 v6, v[6:7]
	v_cvt_f32_f64_e32 v7, v[4:5]
	v_mul_f32_e32 v4, v65, v3
	v_fmac_f32_e32 v4, v64, v2
	v_mul_f32_e32 v2, v65, v2
	v_fma_f32 v2, v64, v3, -v2
	v_cvt_f64_f32_e32 v[4:5], v4
	v_cvt_f64_f32_e32 v[2:3], v2
	v_mul_f64 v[4:5], v[4:5], s[0:1]
	v_mul_f64 v[2:3], v[2:3], s[0:1]
	v_cvt_f32_f64_e32 v4, v[4:5]
	v_cvt_f32_f64_e32 v5, v[2:3]
	v_mul_f32_e32 v2, v73, v11
	v_fmac_f32_e32 v2, v72, v10
	v_mad_u64_u32 v[0:1], s[6:7], s4, v95, v[0:1]
	v_cvt_f64_f32_e32 v[2:3], v2
	v_add_u32_e32 v1, s3, v1
	v_mul_f64 v[2:3], v[2:3], s[0:1]
	global_store_dwordx2 v[0:1], v[6:7], off
	v_mad_u64_u32 v[0:1], s[6:7], s4, v77, v[0:1]
	v_cvt_f32_f64_e32 v2, v[2:3]
	v_mul_f32_e32 v3, v73, v10
	v_add_u32_e32 v1, s2, v1
	v_fma_f32 v3, v72, v11, -v3
	global_store_dwordx2 v[0:1], v[4:5], off
	v_cvt_f64_f32_e32 v[4:5], v3
	v_mul_f64 v[4:5], v[4:5], s[0:1]
	v_mad_u64_u32 v[0:1], s[6:7], s4, v77, v[0:1]
	v_cvt_f32_f64_e32 v3, v[4:5]
	v_add_u32_e32 v1, s2, v1
	global_store_dwordx2 v[0:1], v[2:3], off
	v_mul_f32_e32 v2, v63, v9
	v_fmac_f32_e32 v2, v62, v8
	v_cvt_f64_f32_e32 v[2:3], v2
	v_mul_f64 v[2:3], v[2:3], s[0:1]
	v_cvt_f32_f64_e32 v2, v[2:3]
	v_mul_f32_e32 v3, v63, v8
	v_fma_f32 v3, v62, v9, -v3
	v_cvt_f64_f32_e32 v[4:5], v3
	v_mul_f64 v[4:5], v[4:5], s[0:1]
	v_cvt_f32_f64_e32 v3, v[4:5]
	ds_read_b64 v[4:5], v97 offset:2800
	v_mad_u64_u32 v[0:1], s[6:7], s4, v77, v[0:1]
	v_add_u32_e32 v1, s2, v1
	global_store_dwordx2 v[0:1], v[2:3], off
	s_waitcnt lgkmcnt(0)
	v_mul_f32_e32 v2, v61, v5
	v_fmac_f32_e32 v2, v60, v4
	v_cvt_f64_f32_e32 v[2:3], v2
	v_mul_f64 v[2:3], v[2:3], s[0:1]
	v_cvt_f32_f64_e32 v2, v[2:3]
	v_mul_f32_e32 v3, v61, v4
	v_fma_f32 v3, v60, v5, -v3
	v_cvt_f64_f32_e32 v[4:5], v3
	v_mul_f64 v[4:5], v[4:5], s[0:1]
	v_mad_u64_u32 v[0:1], s[0:1], s4, v77, v[0:1]
	v_cvt_f32_f64_e32 v3, v[4:5]
	v_add_u32_e32 v1, s2, v1
	global_store_dwordx2 v[0:1], v[2:3], off
.LBB0_2:
	s_endpgm
	.section	.rodata,"a",@progbits
	.p2align	6, 0x0
	.amdhsa_kernel bluestein_single_back_len375_dim1_sp_op_CI_CI
		.amdhsa_group_segment_fixed_size 15000
		.amdhsa_private_segment_fixed_size 0
		.amdhsa_kernarg_size 104
		.amdhsa_user_sgpr_count 2
		.amdhsa_user_sgpr_dispatch_ptr 0
		.amdhsa_user_sgpr_queue_ptr 0
		.amdhsa_user_sgpr_kernarg_segment_ptr 1
		.amdhsa_user_sgpr_dispatch_id 0
		.amdhsa_user_sgpr_kernarg_preload_length 0
		.amdhsa_user_sgpr_kernarg_preload_offset 0
		.amdhsa_user_sgpr_private_segment_size 0
		.amdhsa_uses_dynamic_stack 0
		.amdhsa_enable_private_segment 0
		.amdhsa_system_sgpr_workgroup_id_x 1
		.amdhsa_system_sgpr_workgroup_id_y 0
		.amdhsa_system_sgpr_workgroup_id_z 0
		.amdhsa_system_sgpr_workgroup_info 0
		.amdhsa_system_vgpr_workitem_id 0
		.amdhsa_next_free_vgpr 168
		.amdhsa_next_free_sgpr 18
		.amdhsa_accum_offset 168
		.amdhsa_reserve_vcc 1
		.amdhsa_float_round_mode_32 0
		.amdhsa_float_round_mode_16_64 0
		.amdhsa_float_denorm_mode_32 3
		.amdhsa_float_denorm_mode_16_64 3
		.amdhsa_dx10_clamp 1
		.amdhsa_ieee_mode 1
		.amdhsa_fp16_overflow 0
		.amdhsa_tg_split 0
		.amdhsa_exception_fp_ieee_invalid_op 0
		.amdhsa_exception_fp_denorm_src 0
		.amdhsa_exception_fp_ieee_div_zero 0
		.amdhsa_exception_fp_ieee_overflow 0
		.amdhsa_exception_fp_ieee_underflow 0
		.amdhsa_exception_fp_ieee_inexact 0
		.amdhsa_exception_int_div_zero 0
	.end_amdhsa_kernel
	.text
.Lfunc_end0:
	.size	bluestein_single_back_len375_dim1_sp_op_CI_CI, .Lfunc_end0-bluestein_single_back_len375_dim1_sp_op_CI_CI
                                        ; -- End function
	.section	.AMDGPU.csdata,"",@progbits
; Kernel info:
; codeLenInByte = 12716
; NumSgprs: 24
; NumVgprs: 168
; NumAgprs: 0
; TotalNumVgprs: 168
; ScratchSize: 0
; MemoryBound: 0
; FloatMode: 240
; IeeeMode: 1
; LDSByteSize: 15000 bytes/workgroup (compile time only)
; SGPRBlocks: 2
; VGPRBlocks: 20
; NumSGPRsForWavesPerEU: 24
; NumVGPRsForWavesPerEU: 168
; AccumOffset: 168
; Occupancy: 3
; WaveLimiterHint : 1
; COMPUTE_PGM_RSRC2:SCRATCH_EN: 0
; COMPUTE_PGM_RSRC2:USER_SGPR: 2
; COMPUTE_PGM_RSRC2:TRAP_HANDLER: 0
; COMPUTE_PGM_RSRC2:TGID_X_EN: 1
; COMPUTE_PGM_RSRC2:TGID_Y_EN: 0
; COMPUTE_PGM_RSRC2:TGID_Z_EN: 0
; COMPUTE_PGM_RSRC2:TIDIG_COMP_CNT: 0
; COMPUTE_PGM_RSRC3_GFX90A:ACCUM_OFFSET: 41
; COMPUTE_PGM_RSRC3_GFX90A:TG_SPLIT: 0
	.text
	.p2alignl 6, 3212836864
	.fill 256, 4, 3212836864
	.type	__hip_cuid_cb6232372ab6eec6,@object ; @__hip_cuid_cb6232372ab6eec6
	.section	.bss,"aw",@nobits
	.globl	__hip_cuid_cb6232372ab6eec6
__hip_cuid_cb6232372ab6eec6:
	.byte	0                               ; 0x0
	.size	__hip_cuid_cb6232372ab6eec6, 1

	.ident	"AMD clang version 19.0.0git (https://github.com/RadeonOpenCompute/llvm-project roc-6.4.0 25133 c7fe45cf4b819c5991fe208aaa96edf142730f1d)"
	.section	".note.GNU-stack","",@progbits
	.addrsig
	.addrsig_sym __hip_cuid_cb6232372ab6eec6
	.amdgpu_metadata
---
amdhsa.kernels:
  - .agpr_count:     0
    .args:
      - .actual_access:  read_only
        .address_space:  global
        .offset:         0
        .size:           8
        .value_kind:     global_buffer
      - .actual_access:  read_only
        .address_space:  global
        .offset:         8
        .size:           8
        .value_kind:     global_buffer
      - .actual_access:  read_only
        .address_space:  global
        .offset:         16
        .size:           8
        .value_kind:     global_buffer
      - .actual_access:  read_only
        .address_space:  global
        .offset:         24
        .size:           8
        .value_kind:     global_buffer
      - .actual_access:  read_only
        .address_space:  global
        .offset:         32
        .size:           8
        .value_kind:     global_buffer
      - .offset:         40
        .size:           8
        .value_kind:     by_value
      - .address_space:  global
        .offset:         48
        .size:           8
        .value_kind:     global_buffer
      - .address_space:  global
        .offset:         56
        .size:           8
        .value_kind:     global_buffer
      - .address_space:  global
        .offset:         64
        .size:           8
        .value_kind:     global_buffer
      - .address_space:  global
        .offset:         72
        .size:           8
        .value_kind:     global_buffer
      - .offset:         80
        .size:           4
        .value_kind:     by_value
      - .address_space:  global
        .offset:         88
        .size:           8
        .value_kind:     global_buffer
      - .address_space:  global
        .offset:         96
        .size:           8
        .value_kind:     global_buffer
    .group_segment_fixed_size: 15000
    .kernarg_segment_align: 8
    .kernarg_segment_size: 104
    .language:       OpenCL C
    .language_version:
      - 2
      - 0
    .max_flat_workgroup_size: 125
    .name:           bluestein_single_back_len375_dim1_sp_op_CI_CI
    .private_segment_fixed_size: 0
    .sgpr_count:     24
    .sgpr_spill_count: 0
    .symbol:         bluestein_single_back_len375_dim1_sp_op_CI_CI.kd
    .uniform_work_group_size: 1
    .uses_dynamic_stack: false
    .vgpr_count:     168
    .vgpr_spill_count: 0
    .wavefront_size: 64
amdhsa.target:   amdgcn-amd-amdhsa--gfx950
amdhsa.version:
  - 1
  - 2
...

	.end_amdgpu_metadata
